;; amdgpu-corpus repo=ROCm/rocFFT kind=compiled arch=gfx1030 opt=O3
	.text
	.amdgcn_target "amdgcn-amd-amdhsa--gfx1030"
	.amdhsa_code_object_version 6
	.protected	bluestein_single_back_len810_dim1_dp_op_CI_CI ; -- Begin function bluestein_single_back_len810_dim1_dp_op_CI_CI
	.globl	bluestein_single_back_len810_dim1_dp_op_CI_CI
	.p2align	8
	.type	bluestein_single_back_len810_dim1_dp_op_CI_CI,@function
bluestein_single_back_len810_dim1_dp_op_CI_CI: ; @bluestein_single_back_len810_dim1_dp_op_CI_CI
; %bb.0:
	s_load_dwordx4 s[8:11], s[4:5], 0x28
	v_mul_u32_u24_e32 v1, 0x32a, v0
	s_mov_b64 s[26:27], s[2:3]
	s_mov_b64 s[24:25], s[0:1]
	v_mov_b32_e32 v219, 0
	s_add_u32 s24, s24, s7
	v_lshrrev_b32_e32 v1, 16, v1
	s_addc_u32 s25, s25, 0
	s_mov_b32 s0, exec_lo
	v_add_nc_u32_e32 v218, s6, v1
	s_waitcnt lgkmcnt(0)
	v_cmpx_gt_u64_e64 s[8:9], v[218:219]
	s_cbranch_execz .LBB0_39
; %bb.1:
	s_clause 0x1
	s_load_dwordx4 s[0:3], s[4:5], 0x18
	s_load_dwordx2 s[6:7], s[4:5], 0x0
	v_mul_lo_u16 v1, 0x51, v1
	v_sub_nc_u16 v110, v0, v1
	v_and_b32_e32 v224, 0xffff, v110
	v_lshlrev_b32_e32 v223, 4, v224
	s_waitcnt lgkmcnt(0)
	s_load_dwordx4 s[12:15], s[0:1], 0x0
	s_clause 0x1
	global_load_dwordx4 v[0:3], v223, s[6:7]
	global_load_dwordx4 v[4:7], v223, s[6:7] offset:1296
	v_add_co_u32 v192, s0, s6, v223
	v_add_co_ci_u32_e64 v193, null, s7, 0, s0
	v_add_co_u32 v8, vcc_lo, 0x1000, v192
	v_add_co_ci_u32_e32 v9, vcc_lo, 0, v193, vcc_lo
	v_add_co_u32 v253, vcc_lo, 0x2000, v192
	v_add_co_ci_u32_e32 v254, vcc_lo, 0, v193, vcc_lo
	v_add_co_u32 v38, vcc_lo, 0x800, v192
	v_add_co_ci_u32_e32 v39, vcc_lo, 0, v193, vcc_lo
	s_waitcnt lgkmcnt(0)
	v_mad_u64_u32 v[20:21], null, s14, v218, 0
	v_mad_u64_u32 v[22:23], null, s12, v224, 0
	v_add_co_u32 v24, vcc_lo, 0x1800, v192
	v_add_co_ci_u32_e32 v25, vcc_lo, 0, v193, vcc_lo
	v_mov_b32_e32 v10, v21
	v_add_co_u32 v28, vcc_lo, 0x2800, v192
	v_mov_b32_e32 v11, v23
	v_add_co_ci_u32_e32 v29, vcc_lo, 0, v193, vcc_lo
	s_mul_i32 s1, s13, 0x10e
	s_mul_hi_u32 s7, s12, 0x10e
	v_mad_u64_u32 v[26:27], null, s15, v218, v[10:11]
	v_mad_u64_u32 v[30:31], null, s13, v224, v[11:12]
	s_clause 0x3
	global_load_dwordx4 v[16:19], v[8:9], off offset:224
	global_load_dwordx4 v[12:15], v[8:9], off offset:1520
	;; [unrolled: 1-line block ×4, first 2 shown]
	buffer_store_dword v38, off, s[24:27], 0 ; 4-byte Folded Spill
	buffer_store_dword v39, off, s[24:27], 0 offset:4 ; 4-byte Folded Spill
	s_mul_i32 s0, s12, 0x10e
	v_mov_b32_e32 v21, v26
	s_mul_hi_u32 s9, s12, 0xfffffe35
	v_mov_b32_e32 v23, v30
	s_add_i32 s1, s7, s1
	s_mul_i32 s8, s13, 0xfffffe35
	v_lshlrev_b64 v[20:21], 4, v[20:21]
	s_mul_i32 s6, s12, 0xfffffe35
	v_lshlrev_b64 v[22:23], 4, v[22:23]
	s_sub_i32 s7, s9, s12
	s_lshl_b64 s[12:13], s[0:1], 4
	s_add_i32 s7, s7, s8
	v_add_co_u32 v20, vcc_lo, s10, v20
	v_add_co_ci_u32_e32 v21, vcc_lo, s11, v21, vcc_lo
	s_lshl_b64 s[0:1], s[6:7], 4
	v_add_co_u32 v26, vcc_lo, v20, v22
	v_add_co_ci_u32_e32 v27, vcc_lo, v21, v23, vcc_lo
	v_add_co_u32 v30, vcc_lo, v26, s12
	v_add_co_ci_u32_e32 v31, vcc_lo, s13, v27, vcc_lo
	;; [unrolled: 2-line block ×5, first 2 shown]
	global_load_dwordx4 v[20:23], v[38:39], off offset:544
	s_clause 0x1
	global_load_dwordx4 v[38:41], v[26:27], off
	global_load_dwordx4 v[42:45], v[30:31], off
	v_add_co_u32 v26, vcc_lo, v54, s12
	v_add_co_ci_u32_e32 v27, vcc_lo, s13, v55, vcc_lo
	s_clause 0x1
	global_load_dwordx4 v[46:49], v[36:37], off
	global_load_dwordx4 v[50:53], v[50:51], off
	v_add_co_u32 v30, vcc_lo, v26, s0
	v_add_co_ci_u32_e32 v31, vcc_lo, s1, v27, vcc_lo
	global_load_dwordx4 v[58:61], v[26:27], off
	v_add_co_u32 v66, vcc_lo, v30, s12
	v_add_co_ci_u32_e32 v67, vcc_lo, s13, v31, vcc_lo
	;; [unrolled: 3-line block ×3, first 2 shown]
	global_load_dwordx4 v[62:65], v[30:31], off
	global_load_dwordx4 v[66:69], v[66:67], off
	s_clause 0x1
	global_load_dwordx4 v[24:27], v[24:25], off offset:768
	global_load_dwordx4 v[28:31], v[28:29], off offset:992
	global_load_dwordx4 v[70:73], v[36:37], off
	s_load_dwordx2 s[6:7], s[4:5], 0x38
	s_load_dwordx4 s[8:11], s[2:3], 0x0
	v_cmp_gt_u16_e32 vcc_lo, 27, v110
	s_waitcnt vmcnt(10)
	v_mul_f64 v[74:75], v[40:41], v[2:3]
	v_mul_f64 v[76:77], v[38:39], v[2:3]
	s_waitcnt vmcnt(9)
	v_mul_f64 v[78:79], v[44:45], v[18:19]
	v_mul_f64 v[80:81], v[42:43], v[18:19]
	;; [unrolled: 3-line block ×5, first 2 shown]
	s_waitcnt vmcnt(5)
	v_mul_f64 v[90:91], v[56:57], v[14:15]
	s_waitcnt vmcnt(4)
	v_mul_f64 v[98:99], v[64:65], v[22:23]
	v_mul_f64 v[100:101], v[62:63], v[22:23]
	s_waitcnt vmcnt(2)
	v_mul_f64 v[102:103], v[68:69], v[26:27]
	;; [unrolled: 3-line block ×3, first 2 shown]
	v_mul_f64 v[108:109], v[70:71], v[30:31]
	v_mul_f64 v[92:93], v[54:55], v[14:15]
	v_fma_f64 v[38:39], v[38:39], v[0:1], v[74:75]
	v_fma_f64 v[40:41], v[40:41], v[0:1], -v[76:77]
	v_fma_f64 v[42:43], v[42:43], v[16:17], v[78:79]
	v_fma_f64 v[44:45], v[44:45], v[16:17], -v[80:81]
	v_fma_f64 v[46:47], v[46:47], v[32:33], v[82:83]
	v_fma_f64 v[48:49], v[48:49], v[32:33], -v[84:85]
	v_fma_f64 v[50:51], v[50:51], v[4:5], v[86:87]
	v_fma_f64 v[52:53], v[52:53], v[4:5], -v[88:89]
	v_fma_f64 v[58:59], v[58:59], v[8:9], v[94:95]
	v_fma_f64 v[60:61], v[60:61], v[8:9], -v[96:97]
	v_fma_f64 v[54:55], v[54:55], v[12:13], v[90:91]
	v_fma_f64 v[62:63], v[62:63], v[20:21], v[98:99]
	v_fma_f64 v[64:65], v[64:65], v[20:21], -v[100:101]
	v_fma_f64 v[66:67], v[66:67], v[24:25], v[102:103]
	v_fma_f64 v[68:69], v[68:69], v[24:25], -v[104:105]
	;; [unrolled: 2-line block ×3, first 2 shown]
	v_fma_f64 v[56:57], v[56:57], v[12:13], -v[92:93]
	ds_write_b128 v223, v[38:41]
	ds_write_b128 v223, v[42:45] offset:4320
	ds_write_b128 v223, v[46:49] offset:8640
	;; [unrolled: 1-line block ×8, first 2 shown]
	s_and_saveexec_b32 s2, vcc_lo
	s_cbranch_execz .LBB0_3
; %bb.2:
	v_add_co_u32 v40, s0, v36, s0
	v_add_co_ci_u32_e64 v41, s0, s1, v37, s0
	v_add_co_u32 v44, s0, v40, s12
	global_load_dwordx4 v[36:39], v[40:41], off
	v_add_co_ci_u32_e64 v45, s0, s13, v41, s0
	s_clause 0x1
	buffer_load_dword v40, off, s[24:27], 0
	buffer_load_dword v41, off, s[24:27], 0 offset:4
	v_add_co_u32 v52, s0, 0x3000, v192
	v_add_co_ci_u32_e64 v53, s0, 0, v193, s0
	v_add_co_u32 v56, s0, v44, s12
	v_add_co_ci_u32_e64 v57, s0, s13, v45, s0
	s_waitcnt vmcnt(0)
	global_load_dwordx4 v[40:43], v[40:41], off offset:1840
	global_load_dwordx4 v[44:47], v[44:45], off
	s_clause 0x1
	global_load_dwordx4 v[48:51], v[253:254], off offset:16
	global_load_dwordx4 v[52:55], v[52:53], off offset:240
	global_load_dwordx4 v[56:59], v[56:57], off
	s_waitcnt vmcnt(4)
	v_mul_f64 v[60:61], v[38:39], v[42:43]
	v_mul_f64 v[42:43], v[36:37], v[42:43]
	s_waitcnt vmcnt(2)
	v_mul_f64 v[62:63], v[46:47], v[50:51]
	v_mul_f64 v[50:51], v[44:45], v[50:51]
	;; [unrolled: 3-line block ×3, first 2 shown]
	v_fma_f64 v[36:37], v[36:37], v[40:41], v[60:61]
	v_fma_f64 v[38:39], v[38:39], v[40:41], -v[42:43]
	v_fma_f64 v[40:41], v[44:45], v[48:49], v[62:63]
	v_fma_f64 v[42:43], v[46:47], v[48:49], -v[50:51]
	;; [unrolled: 2-line block ×3, first 2 shown]
	ds_write_b128 v223, v[36:39] offset:3888
	ds_write_b128 v223, v[40:43] offset:8208
	ds_write_b128 v223, v[44:47] offset:12528
.LBB0_3:
	s_or_b32 exec_lo, exec_lo, s2
	s_waitcnt lgkmcnt(0)
	s_waitcnt_vscnt null, 0x0
	s_barrier
	buffer_gl0_inv
	ds_read_b128 v[72:75], v223
	ds_read_b128 v[64:67], v223 offset:1296
	ds_read_b128 v[56:59], v223 offset:8640
	ds_read_b128 v[52:55], v223 offset:9936
	ds_read_b128 v[80:83], v223 offset:4320
	ds_read_b128 v[60:63], v223 offset:2592
	ds_read_b128 v[76:79], v223 offset:5616
	ds_read_b128 v[68:71], v223 offset:6912
	ds_read_b128 v[48:51], v223 offset:11232
                                        ; implicit-def: $vgpr36_vgpr37
                                        ; implicit-def: $vgpr40_vgpr41
                                        ; implicit-def: $vgpr44_vgpr45
	s_and_saveexec_b32 s0, vcc_lo
	s_cbranch_execz .LBB0_5
; %bb.4:
	ds_read_b128 v[36:39], v223 offset:3888
	ds_read_b128 v[40:43], v223 offset:8208
	;; [unrolled: 1-line block ×3, first 2 shown]
.LBB0_5:
	s_or_b32 exec_lo, exec_lo, s0
	s_waitcnt lgkmcnt(4)
	v_add_f64 v[84:85], v[80:81], v[56:57]
	v_add_f64 v[86:87], v[82:83], v[58:59]
	s_waitcnt lgkmcnt(2)
	v_add_f64 v[88:89], v[76:77], v[52:53]
	v_add_f64 v[90:91], v[78:79], v[54:55]
	;; [unrolled: 3-line block ×3, first 2 shown]
	v_add_f64 v[92:93], v[68:69], v[48:49]
	v_add_f64 v[96:97], v[70:71], v[50:51]
	v_add_co_u32 v197, s0, 0x51, v224
	v_add_co_ci_u32_e64 v184, null, 0, 0, s0
	v_add_co_u32 v196, s0, 0xa2, v224
	v_add_co_ci_u32_e64 v94, null, 0, 0, s0
	v_add_f64 v[94:95], v[72:73], v[80:81]
	v_add_f64 v[98:99], v[82:83], -v[58:59]
	v_add_f64 v[82:83], v[74:75], v[82:83]
	v_add_f64 v[80:81], v[80:81], -v[56:57]
	v_add_f64 v[112:113], v[42:43], -v[46:47]
	;; [unrolled: 1-line block ×3, first 2 shown]
	v_fma_f64 v[72:73], v[84:85], -0.5, v[72:73]
	v_fma_f64 v[74:75], v[86:87], -0.5, v[74:75]
	v_add_f64 v[84:85], v[64:65], v[76:77]
	v_add_f64 v[86:87], v[78:79], -v[54:55]
	v_fma_f64 v[88:89], v[88:89], -0.5, v[64:65]
	v_add_f64 v[78:79], v[66:67], v[78:79]
	v_add_f64 v[76:77], v[76:77], -v[52:53]
	v_fma_f64 v[90:91], v[90:91], -0.5, v[66:67]
	v_fma_f64 v[100:101], v[100:101], -0.5, v[36:37]
	;; [unrolled: 1-line block ×3, first 2 shown]
	v_add_f64 v[104:105], v[60:61], v[68:69]
	v_add_f64 v[108:109], v[62:63], v[70:71]
	v_add_f64 v[106:107], v[70:71], -v[50:51]
	v_fma_f64 v[92:93], v[92:93], -0.5, v[60:61]
	v_add_f64 v[110:111], v[68:69], -v[48:49]
	v_fma_f64 v[96:97], v[96:97], -0.5, v[62:63]
	s_mov_b32 s0, 0xe8584caa
	s_load_dwordx2 s[2:3], s[4:5], 0x8
	s_mov_b32 s1, 0x3febb67a
	s_mov_b32 s5, 0xbfebb67a
	;; [unrolled: 1-line block ×3, first 2 shown]
	v_add_f64 v[56:57], v[94:95], v[56:57]
	v_fma_f64 v[60:61], v[98:99], s[0:1], v[72:73]
	v_fma_f64 v[64:65], v[98:99], s[4:5], v[72:73]
	v_add_f64 v[58:59], v[82:83], v[58:59]
	v_fma_f64 v[62:63], v[80:81], s[4:5], v[74:75]
	v_fma_f64 v[66:67], v[80:81], s[0:1], v[74:75]
	;; [unrolled: 3-line block ×4, first 2 shown]
	v_fma_f64 v[84:85], v[112:113], s[0:1], v[100:101]
	v_fma_f64 v[88:89], v[112:113], s[4:5], v[100:101]
	;; [unrolled: 1-line block ×4, first 2 shown]
	v_add_f64 v[48:49], v[104:105], v[48:49]
	v_add_f64 v[50:51], v[108:109], v[50:51]
	v_fma_f64 v[76:77], v[106:107], s[0:1], v[92:93]
	v_fma_f64 v[78:79], v[110:111], s[4:5], v[96:97]
	;; [unrolled: 1-line block ×4, first 2 shown]
	v_mul_lo_u16 v92, v224, 3
	v_mov_b32_e32 v93, 4
	v_add_co_u32 v194, s0, 0xf3, v224
	v_mul_u32_u24_e32 v94, 3, v197
	v_add_co_ci_u32_e64 v195, null, 0, 0, s0
	v_lshlrev_b32_sdwa v233, v93, v92 dst_sel:DWORD dst_unused:UNUSED_PAD src0_sel:DWORD src1_sel:WORD_0
	v_mul_u32_u24_e32 v92, 3, v196
	v_lshlrev_b32_e32 v234, 4, v94
	v_mul_u32_u24_e32 v232, 3, v194
	s_waitcnt lgkmcnt(0)
	s_barrier
	v_lshlrev_b32_e32 v231, 4, v92
	buffer_gl0_inv
	ds_write_b128 v233, v[56:59]
	ds_write_b128 v233, v[60:63] offset:16
	ds_write_b128 v233, v[64:67] offset:32
	ds_write_b128 v234, v[52:55]
	ds_write_b128 v234, v[68:71] offset:16
	ds_write_b128 v234, v[72:75] offset:32
	;; [unrolled: 3-line block ×3, first 2 shown]
	s_and_saveexec_b32 s0, vcc_lo
	s_cbranch_execz .LBB0_7
; %bb.6:
	v_add_f64 v[38:39], v[38:39], v[42:43]
	v_add_f64 v[36:37], v[36:37], v[40:41]
	v_lshlrev_b32_e32 v40, 4, v232
	v_add_f64 v[38:39], v[38:39], v[46:47]
	v_add_f64 v[36:37], v[36:37], v[44:45]
	ds_write_b128 v40, v[84:87] offset:16
	ds_write_b128 v40, v[36:39]
	ds_write_b128 v40, v[88:91] offset:32
.LBB0_7:
	s_or_b32 exec_lo, exec_lo, s0
	v_and_b32_e32 v36, 0xff, v224
	s_waitcnt lgkmcnt(0)
	s_barrier
	buffer_gl0_inv
	s_mov_b32 s0, 0x134454ff
	v_mul_lo_u16 v37, 0xab, v36
	s_mov_b32 s1, 0x3fee6f0e
	s_mov_b32 s5, 0xbfee6f0e
	;; [unrolled: 1-line block ×4, first 2 shown]
	v_lshrrev_b16 v37, 9, v37
	s_mov_b32 s15, 0x3fe2cf23
	s_mov_b32 s13, 0xbfe2cf23
	;; [unrolled: 1-line block ×4, first 2 shown]
	v_mul_lo_u16 v38, v37, 3
	s_mov_b32 s17, 0x3fd3c6ef
	s_mov_b32 s18, 0x9b97f4a8
	s_mov_b32 s19, 0x3fe9e377
	v_mov_b32_e32 v67, 30
	v_sub_nc_u16 v38, v224, v38
	v_mul_u32_u24_sdwa v37, v37, v67 dst_sel:DWORD dst_unused:UNUSED_PAD src0_sel:WORD_0 src1_sel:DWORD
	v_and_b32_e32 v38, 0xff, v38
	v_mad_u64_u32 v[39:40], null, 0x90, v38, s[2:3]
	v_add_lshl_u32 v226, v37, v38, 4
	s_clause 0x8
	global_load_dwordx4 v[76:79], v[39:40], off offset:64
	global_load_dwordx4 v[80:83], v[39:40], off offset:32
	global_load_dwordx4 v[72:75], v[39:40], off offset:96
	global_load_dwordx4 v[68:71], v[39:40], off offset:128
	global_load_dwordx4 v[128:131], v[39:40], off offset:16
	global_load_dwordx4 v[100:103], v[39:40], off offset:48
	global_load_dwordx4 v[96:99], v[39:40], off offset:80
	global_load_dwordx4 v[92:95], v[39:40], off offset:112
	global_load_dwordx4 v[140:143], v[39:40], off
	ds_read_b128 v[39:42], v223 offset:6480
	ds_read_b128 v[43:46], v223 offset:3888
	;; [unrolled: 1-line block ×9, first 2 shown]
	ds_read_b128 v[112:115], v223
	s_waitcnt vmcnt(0) lgkmcnt(0)
	s_barrier
	buffer_gl0_inv
	v_mul_f64 v[116:117], v[41:42], v[78:79]
	v_mul_f64 v[122:123], v[39:40], v[78:79]
	;; [unrolled: 1-line block ×18, first 2 shown]
	v_fma_f64 v[39:40], v[39:40], v[76:77], -v[116:117]
	v_fma_f64 v[41:42], v[41:42], v[76:77], v[122:123]
	v_fma_f64 v[49:50], v[49:50], v[72:73], v[124:125]
	v_fma_f64 v[47:48], v[47:48], v[72:73], -v[134:135]
	v_fma_f64 v[43:44], v[43:44], v[80:81], -v[118:119]
	v_fma_f64 v[45:46], v[45:46], v[80:81], v[120:121]
	v_fma_f64 v[53:54], v[53:54], v[68:69], v[126:127]
	v_fma_f64 v[51:52], v[51:52], v[68:69], -v[132:133]
	v_fma_f64 v[108:109], v[108:109], v[140:141], -v[156:157]
	v_fma_f64 v[110:111], v[110:111], v[140:141], v[158:159]
	v_fma_f64 v[55:56], v[55:56], v[128:129], -v[136:137]
	v_fma_f64 v[57:58], v[57:58], v[128:129], v[138:139]
	;; [unrolled: 2-line block ×3, first 2 shown]
	v_fma_f64 v[63:64], v[63:64], v[96:97], -v[148:149]
	v_fma_f64 v[104:105], v[104:105], v[92:93], -v[150:151]
	v_fma_f64 v[65:66], v[65:66], v[96:97], v[152:153]
	v_fma_f64 v[106:107], v[106:107], v[92:93], v[154:155]
	v_add_f64 v[116:117], v[41:42], v[49:50]
	v_add_f64 v[122:123], v[39:40], v[47:48]
	v_add_f64 v[138:139], v[41:42], -v[49:50]
	v_add_f64 v[146:147], v[39:40], -v[47:48]
	v_add_f64 v[118:119], v[45:46], v[53:54]
	v_add_f64 v[120:121], v[43:44], v[51:52]
	v_add_f64 v[136:137], v[45:46], -v[53:54]
	v_add_f64 v[144:145], v[43:44], -v[51:52]
	;; [unrolled: 1-line block ×6, first 2 shown]
	v_add_f64 v[124:125], v[59:60], v[63:64]
	v_add_f64 v[126:127], v[55:56], v[104:105]
	;; [unrolled: 1-line block ×4, first 2 shown]
	v_add_f64 v[164:165], v[47:48], -v[51:52]
	v_add_f64 v[170:171], v[49:50], -v[53:54]
	v_add_f64 v[148:149], v[112:113], v[55:56]
	v_add_f64 v[158:159], v[114:115], v[57:58]
	v_add_f64 v[150:151], v[55:56], -v[59:60]
	v_add_f64 v[154:155], v[59:60], -v[55:56]
	v_fma_f64 v[116:117], v[116:117], -0.5, v[110:111]
	v_fma_f64 v[122:123], v[122:123], -0.5, v[108:109]
	v_add_f64 v[156:157], v[63:64], -v[104:105]
	v_add_f64 v[172:173], v[57:58], -v[106:107]
	v_fma_f64 v[118:119], v[118:119], -0.5, v[110:111]
	v_fma_f64 v[120:121], v[120:121], -0.5, v[108:109]
	v_add_f64 v[108:109], v[108:109], v[43:44]
	v_add_f64 v[43:44], v[39:40], -v[43:44]
	v_add_f64 v[110:111], v[110:111], v[45:46]
	v_add_f64 v[45:46], v[41:42], -v[45:46]
	v_add_f64 v[174:175], v[61:62], -v[65:66]
	;; [unrolled: 1-line block ×4, first 2 shown]
	v_fma_f64 v[124:125], v[124:125], -0.5, v[112:113]
	v_fma_f64 v[112:113], v[126:127], -0.5, v[112:113]
	;; [unrolled: 1-line block ×4, first 2 shown]
	v_add_f64 v[132:133], v[160:161], v[162:163]
	v_add_f64 v[134:135], v[166:167], v[168:169]
	v_add_f64 v[152:153], v[104:105], -v[63:64]
	v_add_f64 v[187:188], v[57:58], -v[61:62]
	;; [unrolled: 1-line block ×3, first 2 shown]
	v_fma_f64 v[176:177], v[144:145], s[4:5], v[116:117]
	v_fma_f64 v[182:183], v[136:137], s[4:5], v[122:123]
	;; [unrolled: 1-line block ×8, first 2 shown]
	v_add_f64 v[43:44], v[43:44], v[164:165]
	v_add_f64 v[45:46], v[45:46], v[170:171]
	;; [unrolled: 1-line block ×6, first 2 shown]
	v_add_f64 v[189:190], v[106:107], -v[65:66]
	v_fma_f64 v[108:109], v[172:173], s[0:1], v[124:125]
	v_fma_f64 v[110:111], v[172:173], s[4:5], v[124:125]
	;; [unrolled: 1-line block ×4, first 2 shown]
	v_add_f64 v[198:199], v[65:66], -v[106:107]
	v_fma_f64 v[160:161], v[146:147], s[12:13], v[176:177]
	v_fma_f64 v[166:167], v[138:139], s[12:13], v[182:183]
	;; [unrolled: 1-line block ×8, first 2 shown]
	v_add_f64 v[138:139], v[154:155], v[156:157]
	v_fma_f64 v[144:145], v[55:56], s[4:5], v[126:127]
	v_fma_f64 v[126:127], v[55:56], s[0:1], v[126:127]
	;; [unrolled: 1-line block ×4, first 2 shown]
	v_add_f64 v[136:137], v[150:151], v[152:153]
	v_add_f64 v[59:60], v[59:60], v[63:64]
	;; [unrolled: 1-line block ×5, first 2 shown]
	v_fma_f64 v[47:48], v[174:175], s[14:15], v[108:109]
	v_fma_f64 v[49:50], v[174:175], s[12:13], v[110:111]
	;; [unrolled: 1-line block ×12, first 2 shown]
	v_add_f64 v[118:119], v[187:188], v[189:190]
	v_fma_f64 v[108:109], v[185:186], s[12:13], v[144:145]
	v_fma_f64 v[110:111], v[185:186], s[14:15], v[126:127]
	;; [unrolled: 1-line block ×4, first 2 shown]
	v_add_f64 v[57:58], v[57:58], v[198:199]
	v_add_f64 v[59:60], v[59:60], v[104:105]
	;; [unrolled: 1-line block ×5, first 2 shown]
	v_fma_f64 v[104:105], v[136:137], s[16:17], v[47:48]
	v_fma_f64 v[106:107], v[136:137], s[16:17], v[49:50]
	;; [unrolled: 1-line block ×4, first 2 shown]
	v_mul_f64 v[114:115], v[148:149], s[14:15]
	v_mul_f64 v[126:127], v[154:155], s[18:19]
	;; [unrolled: 1-line block ×8, first 2 shown]
	v_fma_f64 v[138:139], v[118:119], s[16:17], v[108:109]
	v_fma_f64 v[118:119], v[118:119], s[16:17], v[110:111]
	;; [unrolled: 1-line block ×4, first 2 shown]
	v_add_f64 v[39:40], v[59:60], v[51:52]
	v_add_f64 v[41:42], v[61:62], v[53:54]
	v_fma_f64 v[63:64], v[122:123], s[18:19], v[114:115]
	v_fma_f64 v[114:115], v[116:117], s[14:15], -v[126:127]
	v_fma_f64 v[116:117], v[148:149], s[18:19], v[132:133]
	v_fma_f64 v[108:109], v[43:44], s[16:17], v[120:121]
	v_fma_f64 v[112:113], v[45:46], s[0:1], -v[124:125]
	v_fma_f64 v[120:121], v[150:151], s[16:17], v[134:135]
	v_fma_f64 v[122:123], v[152:153], s[4:5], -v[144:145]
	v_fma_f64 v[124:125], v[154:155], s[12:13], -v[146:147]
	v_add_f64 v[43:44], v[59:60], -v[51:52]
	v_add_f64 v[45:46], v[61:62], -v[53:54]
	v_add_f64 v[47:48], v[104:105], v[63:64]
	v_add_f64 v[59:60], v[106:107], v[114:115]
	;; [unrolled: 1-line block ×3, first 2 shown]
	v_add_f64 v[63:64], v[104:105], -v[63:64]
	v_add_f64 v[51:52], v[136:137], v[108:109]
	v_add_f64 v[55:56], v[65:66], v[112:113]
	;; [unrolled: 1-line block ×5, first 2 shown]
	v_add_f64 v[112:113], v[65:66], -v[112:113]
	v_add_f64 v[65:66], v[138:139], -v[116:117]
	;; [unrolled: 1-line block ×7, first 2 shown]
	ds_write_b128 v226, v[39:42]
	ds_write_b128 v226, v[43:46] offset:240
	ds_write_b128 v226, v[47:50] offset:48
	;; [unrolled: 1-line block ×9, first 2 shown]
	s_waitcnt lgkmcnt(0)
	s_barrier
	buffer_gl0_inv
	ds_read_b128 v[112:115], v223
	ds_read_b128 v[108:111], v223 offset:1296
	ds_read_b128 v[136:139], v223 offset:8640
	;; [unrolled: 1-line block ×8, first 2 shown]
	s_and_saveexec_b32 s0, vcc_lo
	s_cbranch_execz .LBB0_9
; %bb.8:
	ds_read_b128 v[104:107], v223 offset:3888
	ds_read_b128 v[84:87], v223 offset:8208
	;; [unrolled: 1-line block ×3, first 2 shown]
.LBB0_9:
	s_or_b32 exec_lo, exec_lo, s0
	v_mul_lo_u16 v36, 0x89, v36
	v_mov_b32_e32 v38, 0x8889
	v_and_b32_e32 v37, 0xff, v197
	v_and_b32_e32 v185, 0xff, v196
	s_mov_b32 s5, 0xbfebb67a
	v_lshrrev_b16 v202, 12, v36
	v_mul_u32_u24_sdwa v36, v194, v38 dst_sel:DWORD dst_unused:UNUSED_PAD src0_sel:WORD_0 src1_sel:DWORD
	v_mul_lo_u16 v37, 0x89, v37
	v_mul_lo_u16 v38, 0x89, v185
	v_mov_b32_e32 v208, 0x5a
	v_lshrrev_b32_e32 v36, 20, v36
	v_lshrrev_b16 v203, 12, v37
	v_lshrrev_b16 v204, 12, v38
	v_mul_lo_u16 v37, v202, 30
	v_mul_lo_u16 v36, v36, 30
	;; [unrolled: 1-line block ×4, first 2 shown]
	v_sub_nc_u16 v37, v224, v37
	v_sub_nc_u16 v225, v194, v36
	;; [unrolled: 1-line block ×4, first 2 shown]
	v_and_b32_e32 v205, 0xff, v37
	v_lshlrev_b16 v41, 5, v225
	v_and_b32_e32 v206, 0xff, v38
	v_and_b32_e32 v207, 0xff, v36
	v_lshlrev_b32_e32 v40, 5, v205
	s_clause 0x1
	global_load_dwordx4 v[36:39], v40, s[2:3] offset:448
	global_load_dwordx4 v[56:59], v40, s[2:3] offset:432
	v_and_b32_e32 v45, 0xffff, v41
	v_lshlrev_b32_e32 v44, 5, v206
	v_lshlrev_b32_e32 v46, 5, v207
	s_clause 0x1
	global_load_dwordx4 v[40:43], v44, s[2:3] offset:448
	global_load_dwordx4 v[52:55], v44, s[2:3] offset:432
	v_add_co_u32 v60, s0, s2, v45
	v_add_co_ci_u32_e64 v61, null, s3, 0, s0
	s_clause 0x3
	global_load_dwordx4 v[48:51], v46, s[2:3] offset:432
	global_load_dwordx4 v[44:47], v46, s[2:3] offset:448
	global_load_dwordx4 v[64:67], v[60:61], off offset:432
	global_load_dwordx4 v[60:63], v[60:61], off offset:448
	s_mov_b32 s0, 0xe8584caa
	s_mov_b32 s1, 0x3febb67a
	;; [unrolled: 1-line block ×3, first 2 shown]
	s_waitcnt vmcnt(0) lgkmcnt(0)
	s_barrier
	buffer_gl0_inv
	v_mul_f64 v[154:155], v[138:139], v[38:39]
	v_mul_f64 v[152:153], v[150:151], v[58:59]
	;; [unrolled: 1-line block ×16, first 2 shown]
	v_fma_f64 v[136:137], v[136:137], v[36:37], -v[154:155]
	v_fma_f64 v[148:149], v[148:149], v[56:57], -v[152:153]
	v_fma_f64 v[150:151], v[150:151], v[56:57], v[156:157]
	v_fma_f64 v[138:139], v[138:139], v[36:37], v[158:159]
	v_fma_f64 v[120:121], v[120:121], v[40:41], -v[162:163]
	v_fma_f64 v[144:145], v[144:145], v[52:53], -v[160:161]
	v_fma_f64 v[146:147], v[146:147], v[52:53], v[164:165]
	v_fma_f64 v[122:123], v[122:123], v[40:41], v[166:167]
	;; [unrolled: 1-line block ×4, first 2 shown]
	v_fma_f64 v[84:85], v[84:85], v[64:65], -v[176:177]
	v_fma_f64 v[152:153], v[88:89], v[60:61], -v[178:179]
	v_fma_f64 v[86:87], v[86:87], v[64:65], v[180:181]
	v_fma_f64 v[154:155], v[90:91], v[60:61], v[182:183]
	v_fma_f64 v[124:125], v[124:125], v[48:49], -v[168:169]
	v_fma_f64 v[132:133], v[132:133], v[44:45], -v[170:171]
	v_add_f64 v[88:89], v[148:149], v[136:137]
	v_add_f64 v[162:163], v[112:113], v[148:149]
	;; [unrolled: 1-line block ×3, first 2 shown]
	v_add_f64 v[166:167], v[150:151], -v[138:139]
	v_add_f64 v[150:151], v[114:115], v[150:151]
	v_add_f64 v[148:149], v[148:149], -v[136:137]
	v_add_f64 v[156:157], v[144:145], v[120:121]
	v_add_f64 v[172:173], v[108:109], v[144:145]
	;; [unrolled: 1-line block ×11, first 2 shown]
	v_add_f64 v[146:147], v[146:147], -v[122:123]
	v_add_f64 v[190:191], v[126:127], -v[134:135]
	;; [unrolled: 1-line block ×4, first 2 shown]
	v_fma_f64 v[186:187], v[88:89], -0.5, v[112:113]
	v_add_f64 v[88:89], v[162:163], v[136:137]
	v_fma_f64 v[188:189], v[90:91], -0.5, v[114:115]
	v_add_f64 v[144:145], v[144:145], -v[120:121]
	v_add_f64 v[176:177], v[116:117], v[124:125]
	v_add_f64 v[90:91], v[150:151], v[138:139]
	v_fma_f64 v[156:157], v[156:157], -0.5, v[108:109]
	v_fma_f64 v[126:127], v[158:159], -0.5, v[110:111]
	v_add_f64 v[158:159], v[124:125], -v[132:133]
	v_fma_f64 v[164:165], v[164:165], -0.5, v[118:119]
	v_add_f64 v[110:111], v[178:179], v[134:135]
	v_fma_f64 v[168:169], v[168:169], -0.5, v[104:105]
	v_add_f64 v[104:105], v[172:173], v[120:121]
	;; [unrolled: 2-line block ×4, first 2 shown]
	v_add_f64 v[106:107], v[174:175], v[122:123]
	v_fma_f64 v[116:117], v[166:167], s[4:5], v[186:187]
	v_fma_f64 v[112:113], v[166:167], s[0:1], v[186:187]
	;; [unrolled: 1-line block ×4, first 2 shown]
	v_add_f64 v[108:109], v[176:177], v[132:133]
	v_fma_f64 v[120:121], v[146:147], s[0:1], v[156:157]
	v_fma_f64 v[124:125], v[146:147], s[4:5], v[156:157]
	v_fma_f64 v[122:123], v[144:145], s[4:5], v[126:127]
	v_fma_f64 v[126:127], v[144:145], s[0:1], v[126:127]
	v_fma_f64 v[134:135], v[158:159], s[4:5], v[164:165]
	v_fma_f64 v[138:139], v[158:159], s[0:1], v[164:165]
	v_fma_f64 v[152:153], v[198:199], s[0:1], v[168:169]
	v_fma_f64 v[156:157], v[198:199], s[4:5], v[168:169]
	v_fma_f64 v[154:155], v[200:201], s[4:5], v[162:163]
	v_fma_f64 v[158:159], v[200:201], s[0:1], v[162:163]
	v_fma_f64 v[132:133], v[190:191], s[0:1], v[160:161]
	v_fma_f64 v[136:137], v[190:191], s[4:5], v[160:161]
	v_mul_u32_u24_sdwa v144, v202, v208 dst_sel:DWORD dst_unused:UNUSED_PAD src0_sel:WORD_0 src1_sel:DWORD
	v_mul_u32_u24_sdwa v145, v203, v208 dst_sel:DWORD dst_unused:UNUSED_PAD src0_sel:WORD_0 src1_sel:DWORD
	v_add_lshl_u32 v229, v144, v205, 4
	v_mul_u32_u24_sdwa v144, v204, v208 dst_sel:DWORD dst_unused:UNUSED_PAD src0_sel:WORD_0 src1_sel:DWORD
	v_add_lshl_u32 v230, v145, v206, 4
	ds_write_b128 v229, v[88:91]
	ds_write_b128 v229, v[112:115] offset:480
	v_add_lshl_u32 v228, v144, v207, 4
	ds_write_b128 v229, v[116:119] offset:960
	ds_write_b128 v230, v[104:107]
	ds_write_b128 v230, v[120:123] offset:480
	ds_write_b128 v230, v[124:127] offset:960
	ds_write_b128 v228, v[108:111]
	ds_write_b128 v228, v[132:135] offset:480
	ds_write_b128 v228, v[136:139] offset:960
	s_and_saveexec_b32 s0, vcc_lo
	s_cbranch_execz .LBB0_11
; %bb.10:
	v_mov_b32_e32 v88, 4
	v_lshlrev_b32_sdwa v88, v88, v225 dst_sel:DWORD dst_unused:UNUSED_PAD src0_sel:DWORD src1_sel:WORD_0
	ds_write_b128 v88, v[84:87] offset:11520
	ds_write_b128 v88, v[152:155] offset:12000
	ds_write_b128 v88, v[156:159] offset:12480
.LBB0_11:
	s_or_b32 exec_lo, exec_lo, s0
	s_waitcnt lgkmcnt(0)
	s_barrier
	buffer_gl0_inv
	ds_read_b128 v[148:151], v223
	ds_read_b128 v[88:91], v223 offset:1296
	ds_read_b128 v[172:175], v223 offset:8640
	;; [unrolled: 1-line block ×8, first 2 shown]
	s_and_saveexec_b32 s0, vcc_lo
	s_cbranch_execz .LBB0_13
; %bb.12:
	ds_read_b128 v[84:87], v223 offset:3888
	ds_read_b128 v[152:155], v223 offset:8208
	;; [unrolled: 1-line block ×3, first 2 shown]
.LBB0_13:
	s_or_b32 exec_lo, exec_lo, s0
	v_mov_b32_e32 v104, 0x2d83
	v_mul_lo_u16 v107, 0xb7, v185
	v_add_co_u32 v105, s0, v224, -9
	v_add_co_ci_u32_e64 v106, null, 0, -1, s0
	v_mul_u32_u24_sdwa v104, v194, v104 dst_sel:DWORD dst_unused:UNUSED_PAD src0_sel:WORD_0 src1_sel:DWORD
	v_lshrrev_b16 v191, 14, v107
	v_cmp_gt_u16_e64 s0, 9, v224
	v_lshlrev_b32_e32 v219, 5, v224
	v_lshrrev_b32_e32 v104, 20, v104
	v_mul_lo_u16 v110, 0x5a, v191
	v_cndmask_b32_e64 v189, v106, v184, s0
	v_cndmask_b32_e64 v188, v105, v197, s0
	global_load_dwordx4 v[112:115], v219, s[2:3] offset:1408
	v_mul_lo_u16 v104, 0x5a, v104
	v_sub_nc_u16 v110, v196, v110
	v_lshlrev_b64 v[108:109], 5, v[188:189]
	v_sub_nc_u16 v227, v194, v104
	v_and_b32_e32 v220, 0xff, v110
	global_load_dwordx4 v[104:107], v219, s[2:3] offset:1392
	v_add_co_u32 v116, s0, s2, v108
	v_lshlrev_b16 v111, 5, v227
	v_add_co_ci_u32_e64 v117, s0, s3, v109, s0
	v_lshlrev_b32_e32 v121, 5, v220
	v_and_b32_e32 v120, 0xffff, v111
	s_clause 0x1
	global_load_dwordx4 v[108:111], v[116:117], off offset:1408
	global_load_dwordx4 v[116:119], v[116:117], off offset:1392
	v_add_co_u32 v132, s0, s2, v120
	v_add_co_ci_u32_e64 v133, null, s3, 0, s0
	s_clause 0x3
	global_load_dwordx4 v[124:127], v121, s[2:3] offset:1392
	global_load_dwordx4 v[120:123], v121, s[2:3] offset:1408
	global_load_dwordx4 v[136:139], v[132:133], off offset:1392
	global_load_dwordx4 v[132:135], v[132:133], off offset:1408
	s_mov_b32 s0, 0xe8584caa
	s_mov_b32 s1, 0x3febb67a
	;; [unrolled: 1-line block ×3, first 2 shown]
	s_waitcnt vmcnt(0) lgkmcnt(0)
	s_barrier
	buffer_gl0_inv
	v_mul_f64 v[186:187], v[174:175], v[114:115]
	v_mul_f64 v[198:199], v[172:173], v[114:115]
	;; [unrolled: 1-line block ×8, first 2 shown]
	v_fma_f64 v[172:173], v[172:173], v[112:113], -v[186:187]
	v_fma_f64 v[174:175], v[174:175], v[112:113], v[198:199]
	v_mul_f64 v[208:209], v[166:167], v[126:127]
	v_mul_f64 v[210:211], v[170:171], v[122:123]
	v_mul_f64 v[216:217], v[154:155], v[138:139]
	v_mul_f64 v[221:222], v[158:159], v[134:135]
	v_mul_f64 v[235:236], v[152:153], v[138:139]
	v_mul_f64 v[237:238], v[156:157], v[134:135]
	v_mul_f64 v[212:213], v[164:165], v[126:127]
	v_mul_f64 v[214:215], v[168:169], v[122:123]
	v_fma_f64 v[180:181], v[180:181], v[104:105], -v[184:185]
	v_fma_f64 v[182:183], v[182:183], v[104:105], v[189:190]
	v_fma_f64 v[160:161], v[160:161], v[108:109], -v[202:203]
	v_fma_f64 v[176:177], v[176:177], v[116:117], -v[200:201]
	v_fma_f64 v[178:179], v[178:179], v[116:117], v[204:205]
	v_fma_f64 v[162:163], v[162:163], v[108:109], v[206:207]
	v_fma_f64 v[164:165], v[164:165], v[124:125], -v[208:209]
	v_fma_f64 v[168:169], v[168:169], v[120:121], -v[210:211]
	;; [unrolled: 1-line block ×4, first 2 shown]
	v_fma_f64 v[154:155], v[154:155], v[136:137], v[235:236]
	v_fma_f64 v[186:187], v[158:159], v[132:133], v[237:238]
	v_fma_f64 v[166:167], v[166:167], v[124:125], v[212:213]
	v_fma_f64 v[170:171], v[170:171], v[120:121], v[214:215]
	v_add_f64 v[156:157], v[180:181], v[172:173]
	v_add_f64 v[158:159], v[182:183], v[174:175]
	;; [unrolled: 1-line block ×3, first 2 shown]
	v_add_f64 v[206:207], v[182:183], -v[174:175]
	v_add_f64 v[182:183], v[150:151], v[182:183]
	v_add_f64 v[180:181], v[180:181], -v[172:173]
	v_add_f64 v[189:190], v[176:177], v[160:161]
	v_add_f64 v[212:213], v[88:89], v[176:177]
	;; [unrolled: 1-line block ×4, first 2 shown]
	v_add_f64 v[178:179], v[178:179], -v[162:163]
	v_add_f64 v[176:177], v[176:177], -v[160:161]
	v_add_f64 v[216:217], v[144:145], v[164:165]
	v_add_f64 v[202:203], v[164:165], v[168:169]
	;; [unrolled: 1-line block ×8, first 2 shown]
	v_fma_f64 v[156:157], v[156:157], -0.5, v[148:149]
	v_fma_f64 v[158:159], v[158:159], -0.5, v[150:151]
	v_add_f64 v[239:240], v[154:155], -v[186:187]
	v_fma_f64 v[189:190], v[189:190], -0.5, v[88:89]
	v_add_f64 v[88:89], v[198:199], v[172:173]
	v_fma_f64 v[172:173], v[200:201], -0.5, v[90:91]
	v_add_f64 v[198:199], v[166:167], -v[170:171]
	v_add_f64 v[90:91], v[182:183], v[174:175]
	v_fma_f64 v[200:201], v[202:203], -0.5, v[144:145]
	v_add_f64 v[202:203], v[164:165], -v[168:169]
	v_fma_f64 v[84:85], v[208:209], -0.5, v[84:85]
	v_add_f64 v[208:209], v[152:153], -v[184:185]
	v_fma_f64 v[86:87], v[210:211], -0.5, v[86:87]
	v_add_f64 v[144:145], v[212:213], v[160:161]
	v_fma_f64 v[204:205], v[204:205], -0.5, v[146:147]
	v_add_f64 v[146:147], v[214:215], v[162:163]
	v_fma_f64 v[148:149], v[206:207], s[0:1], v[156:157]
	v_fma_f64 v[152:153], v[206:207], s[4:5], v[156:157]
	v_fma_f64 v[150:151], v[180:181], s[4:5], v[158:159]
	v_fma_f64 v[154:155], v[180:181], s[0:1], v[158:159]
	v_add_f64 v[156:157], v[216:217], v[168:169]
	v_add_f64 v[158:159], v[221:222], v[170:171]
	;; [unrolled: 1-line block ×4, first 2 shown]
	v_fma_f64 v[160:161], v[178:179], s[0:1], v[189:190]
	v_fma_f64 v[164:165], v[178:179], s[4:5], v[189:190]
	;; [unrolled: 1-line block ×4, first 2 shown]
	ds_write_b128 v223, v[88:91]
	ds_write_b128 v223, v[148:151] offset:1440
	v_fma_f64 v[184:185], v[239:240], s[0:1], v[84:85]
	v_fma_f64 v[176:177], v[239:240], s[4:5], v[84:85]
	;; [unrolled: 1-line block ×7, first 2 shown]
	v_add_co_u32 v84, s0, s2, v219
	v_fma_f64 v[180:181], v[198:199], s[4:5], v[200:201]
	v_add_co_ci_u32_e64 v85, null, s3, 0, s0
	v_mov_b32_e32 v86, 0x10e
	v_cmp_lt_u16_e64 s0, 8, v224
	v_mul_u32_u24_sdwa v86, v191, v86 dst_sel:DWORD dst_unused:UNUSED_PAD src0_sel:WORD_0 src1_sel:DWORD
	v_cndmask_b32_e64 v87, 0, 0x10e, s0
	v_add_lshl_u32 v235, v86, v220, 4
	v_add_lshl_u32 v236, v188, v87, 4
	ds_write_b128 v223, v[152:155] offset:2880
	ds_write_b128 v236, v[144:147]
	ds_write_b128 v236, v[160:163] offset:1440
	ds_write_b128 v236, v[164:167] offset:2880
	ds_write_b128 v235, v[156:159]
	ds_write_b128 v235, v[172:175] offset:1440
	ds_write_b128 v235, v[180:183] offset:2880
	s_and_saveexec_b32 s0, vcc_lo
	s_cbranch_execz .LBB0_15
; %bb.14:
	v_mov_b32_e32 v86, 4
	v_lshlrev_b32_sdwa v86, v86, v227 dst_sel:DWORD dst_unused:UNUSED_PAD src0_sel:DWORD src1_sel:WORD_0
	ds_write_b128 v86, v[168:171] offset:8640
	ds_write_b128 v86, v[184:187] offset:10080
	;; [unrolled: 1-line block ×3, first 2 shown]
.LBB0_15:
	s_or_b32 exec_lo, exec_lo, s0
	s_waitcnt lgkmcnt(0)
	s_barrier
	buffer_gl0_inv
	ds_read_b128 v[188:191], v223
	ds_read_b128 v[180:183], v223 offset:1296
	ds_read_b128 v[152:155], v223 offset:8640
	ds_read_b128 v[160:163], v223 offset:9936
	ds_read_b128 v[156:159], v223 offset:4320
	ds_read_b128 v[172:175], v223 offset:2592
	ds_read_b128 v[164:167], v223 offset:5616
	ds_read_b128 v[148:151], v223 offset:6912
	ds_read_b128 v[144:147], v223 offset:11232
	s_and_saveexec_b32 s0, vcc_lo
	s_cbranch_execz .LBB0_17
; %bb.16:
	ds_read_b128 v[168:171], v223 offset:3888
	ds_read_b128 v[184:187], v223 offset:8208
	;; [unrolled: 1-line block ×3, first 2 shown]
.LBB0_17:
	s_or_b32 exec_lo, exec_lo, s0
	v_add_co_u32 v86, s0, 0x1000, v84
	v_add_co_ci_u32_e64 v87, s0, 0, v85, s0
	v_add_co_u32 v88, s0, 0x10b0, v84
	v_add_co_ci_u32_e64 v89, s0, 0, v85, s0
	s_clause 0x1
	global_load_dwordx4 v[84:87], v[86:87], off offset:176
	global_load_dwordx4 v[88:91], v[88:89], off offset:16
	s_waitcnt vmcnt(1) lgkmcnt(4)
	v_mul_f64 v[198:199], v[158:159], v[86:87]
	v_fma_f64 v[198:199], v[156:157], v[84:85], -v[198:199]
	v_mul_f64 v[156:157], v[156:157], v[86:87]
	v_fma_f64 v[200:201], v[158:159], v[84:85], v[156:157]
	s_waitcnt vmcnt(0)
	v_mul_f64 v[156:157], v[154:155], v[90:91]
	v_fma_f64 v[202:203], v[152:153], v[88:89], -v[156:157]
	v_mul_f64 v[152:153], v[152:153], v[90:91]
	v_fma_f64 v[204:205], v[154:155], v[88:89], v[152:153]
	v_lshlrev_b32_e32 v152, 5, v197
	v_add_co_u32 v154, s0, s2, v152
	v_add_co_ci_u32_e64 v155, null, s3, 0, s0
	v_add_co_u32 v152, s0, 0x1000, v154
	v_add_co_ci_u32_e64 v153, s0, 0, v155, s0
	v_add_co_u32 v156, s0, 0x10b0, v154
	v_add_co_ci_u32_e64 v157, s0, 0, v155, s0
	s_clause 0x1
	global_load_dwordx4 v[152:155], v[152:153], off offset:176
	global_load_dwordx4 v[156:159], v[156:157], off offset:16
	s_waitcnt vmcnt(1) lgkmcnt(2)
	v_mul_f64 v[206:207], v[166:167], v[154:155]
	v_fma_f64 v[206:207], v[164:165], v[152:153], -v[206:207]
	v_mul_f64 v[164:165], v[164:165], v[154:155]
	v_fma_f64 v[208:209], v[166:167], v[152:153], v[164:165]
	s_waitcnt vmcnt(0)
	v_mul_f64 v[164:165], v[162:163], v[158:159]
	v_fma_f64 v[210:211], v[160:161], v[156:157], -v[164:165]
	v_mul_f64 v[160:161], v[160:161], v[158:159]
	v_fma_f64 v[212:213], v[162:163], v[156:157], v[160:161]
	v_lshlrev_b32_e32 v160, 5, v196
	v_add_co_u32 v162, s0, s2, v160
	v_add_co_ci_u32_e64 v163, null, s3, 0, s0
	v_add_co_u32 v160, s0, 0x1000, v162
	v_add_co_ci_u32_e64 v161, s0, 0, v163, s0
	v_add_co_u32 v164, s0, 0x10b0, v162
	v_add_co_ci_u32_e64 v165, s0, 0, v163, s0
	s_clause 0x1
	global_load_dwordx4 v[160:163], v[160:161], off offset:176
	global_load_dwordx4 v[164:167], v[164:165], off offset:16
	s_waitcnt vmcnt(1) lgkmcnt(1)
	v_mul_f64 v[196:197], v[150:151], v[162:163]
	v_fma_f64 v[214:215], v[148:149], v[160:161], -v[196:197]
	v_mul_f64 v[148:149], v[148:149], v[162:163]
	v_add_f64 v[196:197], v[200:201], -v[204:205]
	v_fma_f64 v[216:217], v[150:151], v[160:161], v[148:149]
	s_waitcnt vmcnt(0) lgkmcnt(0)
	v_mul_f64 v[148:149], v[146:147], v[166:167]
	v_fma_f64 v[221:222], v[144:145], v[164:165], -v[148:149]
	v_mul_f64 v[144:145], v[144:145], v[166:167]
	v_fma_f64 v[237:238], v[146:147], v[164:165], v[144:145]
	v_add_co_u32 v144, s0, 0xffffffe5, v224
	v_add_co_ci_u32_e64 v145, null, 0, -1, s0
	v_cndmask_b32_e32 v144, v144, v194, vcc_lo
	v_cndmask_b32_e32 v145, v145, v195, vcc_lo
	v_lshlrev_b64 v[144:145], 5, v[144:145]
	v_add_co_u32 v146, s0, s2, v144
	v_add_co_ci_u32_e64 v147, s0, s3, v145, s0
	s_mov_b32 s3, 0xbfebb67a
	v_add_co_u32 v144, s0, 0x1000, v146
	v_add_co_ci_u32_e64 v145, s0, 0, v147, s0
	v_add_co_u32 v148, s0, 0x10b0, v146
	v_add_co_ci_u32_e64 v149, s0, 0, v147, s0
	s_clause 0x1
	global_load_dwordx4 v[144:147], v[144:145], off offset:176
	global_load_dwordx4 v[148:151], v[148:149], off offset:16
	s_mov_b32 s0, 0xe8584caa
	s_mov_b32 s1, 0x3febb67a
	;; [unrolled: 1-line block ×3, first 2 shown]
	s_waitcnt vmcnt(1)
	v_mul_f64 v[194:195], v[186:187], v[146:147]
	v_fma_f64 v[245:246], v[184:185], v[144:145], -v[194:195]
	v_mul_f64 v[184:185], v[184:185], v[146:147]
	v_add_f64 v[194:195], v[200:201], v[204:205]
	v_fma_f64 v[184:185], v[186:187], v[144:145], v[184:185]
	s_waitcnt vmcnt(0)
	v_mul_f64 v[186:187], v[178:179], v[150:151]
	v_fma_f64 v[239:240], v[194:195], -0.5, v[190:191]
	v_add_f64 v[190:191], v[190:191], v[200:201]
	v_add_f64 v[200:201], v[198:199], -v[202:203]
	v_fma_f64 v[186:187], v[176:177], v[148:149], -v[186:187]
	v_mul_f64 v[176:177], v[176:177], v[150:151]
	v_add_f64 v[190:191], v[190:191], v[204:205]
	v_fma_f64 v[176:177], v[178:179], v[148:149], v[176:177]
	v_add_f64 v[178:179], v[198:199], v[202:203]
	v_fma_f64 v[178:179], v[178:179], -0.5, v[188:189]
	v_add_f64 v[188:189], v[188:189], v[198:199]
	v_fma_f64 v[194:195], v[196:197], s[0:1], v[178:179]
	v_fma_f64 v[198:199], v[196:197], s[2:3], v[178:179]
	v_add_f64 v[178:179], v[206:207], v[210:211]
	v_add_f64 v[188:189], v[188:189], v[202:203]
	;; [unrolled: 1-line block ×3, first 2 shown]
	v_fma_f64 v[196:197], v[200:201], s[2:3], v[239:240]
	v_fma_f64 v[200:201], v[200:201], s[0:1], v[239:240]
	v_fma_f64 v[178:179], v[178:179], -0.5, v[180:181]
	v_add_f64 v[180:181], v[180:181], v[206:207]
	v_fma_f64 v[239:240], v[202:203], -0.5, v[182:183]
	v_add_f64 v[182:183], v[182:183], v[208:209]
	v_add_f64 v[208:209], v[208:209], -v[212:213]
	v_add_f64 v[202:203], v[180:181], v[210:211]
	v_add_f64 v[180:181], v[206:207], -v[210:211]
	v_add_f64 v[204:205], v[182:183], v[212:213]
	v_fma_f64 v[206:207], v[208:209], s[0:1], v[178:179]
	v_fma_f64 v[210:211], v[208:209], s[2:3], v[178:179]
	v_add_f64 v[178:179], v[214:215], v[221:222]
	v_add_f64 v[182:183], v[216:217], -v[237:238]
	v_fma_f64 v[208:209], v[180:181], s[2:3], v[239:240]
	v_fma_f64 v[212:213], v[180:181], s[0:1], v[239:240]
	v_add_f64 v[180:181], v[216:217], v[237:238]
	v_fma_f64 v[178:179], v[178:179], -0.5, v[172:173]
	v_add_f64 v[172:173], v[172:173], v[214:215]
	v_add_f64 v[214:215], v[214:215], -v[221:222]
	v_fma_f64 v[180:181], v[180:181], -0.5, v[174:175]
	v_add_f64 v[174:175], v[174:175], v[216:217]
	v_fma_f64 v[241:242], v[182:183], s[2:3], v[178:179]
	v_add_f64 v[172:173], v[172:173], v[221:222]
	v_fma_f64 v[239:240], v[214:215], s[2:3], v[180:181]
	;; [unrolled: 2-line block ×4, first 2 shown]
	ds_write_b128 v223, v[188:191]
	ds_write_b128 v223, v[194:197] offset:4320
	ds_write_b128 v223, v[198:201] offset:8640
	;; [unrolled: 1-line block ×8, first 2 shown]
	v_fma_f64 v[182:183], v[178:179], -0.5, v[168:169]
	v_add_f64 v[178:179], v[184:185], v[176:177]
	v_add_f64 v[168:169], v[168:169], v[245:246]
	v_fma_f64 v[214:215], v[178:179], -0.5, v[170:171]
	v_add_f64 v[170:171], v[170:171], v[184:185]
	v_add_f64 v[184:185], v[184:185], -v[176:177]
	v_add_f64 v[178:179], v[170:171], v[176:177]
	v_add_f64 v[176:177], v[168:169], v[186:187]
	v_add_f64 v[168:169], v[245:246], -v[186:187]
	v_fma_f64 v[180:181], v[184:185], s[0:1], v[182:183]
	v_fma_f64 v[184:185], v[184:185], s[2:3], v[182:183]
	;; [unrolled: 1-line block ×4, first 2 shown]
	s_and_saveexec_b32 s0, vcc_lo
	s_cbranch_execz .LBB0_19
; %bb.18:
	ds_write_b128 v223, v[176:179] offset:3888
	ds_write_b128 v223, v[180:183] offset:8208
	;; [unrolled: 1-line block ×3, first 2 shown]
.LBB0_19:
	s_or_b32 exec_lo, exec_lo, s0
	v_add_co_u32 v221, s0, 0x3000, v192
	v_add_co_ci_u32_e64 v222, s0, 0, v193, s0
	s_waitcnt lgkmcnt(0)
	s_barrier
	buffer_gl0_inv
	global_load_dwordx4 v[170:173], v[221:222], off offset:672
	v_add_co_u32 v168, s0, 0x4000, v192
	v_add_co_ci_u32_e64 v169, s0, 0, v193, s0
	global_load_dwordx4 v[188:191], v[168:169], off offset:896
	v_add_co_u32 v168, s0, 0x5000, v192
	v_add_co_ci_u32_e64 v169, s0, 0, v193, s0
	;; [unrolled: 3-line block ×3, first 2 shown]
	v_add_co_u32 v214, s0, 0x4800, v192
	v_add_co_ci_u32_e64 v215, s0, 0, v193, s0
	s_clause 0x1
	global_load_dwordx4 v[198:201], v[168:169], off offset:1296
	global_load_dwordx4 v[202:205], v[214:215], off offset:144
	ds_read_b128 v[206:209], v223
	ds_read_b128 v[210:213], v223 offset:4320
	ds_read_b128 v[237:240], v223 offset:1296
	s_waitcnt vmcnt(4) lgkmcnt(2)
	v_mul_f64 v[216:217], v[208:209], v[172:173]
	v_mul_f64 v[245:246], v[206:207], v[172:173]
	ds_read_b128 v[172:175], v223 offset:8640
	ds_read_b128 v[241:244], v223 offset:2592
	s_waitcnt vmcnt(3) lgkmcnt(3)
	v_mul_f64 v[249:250], v[212:213], v[190:191]
	v_mul_f64 v[190:191], v[210:211], v[190:191]
	v_fma_f64 v[206:207], v[206:207], v[170:171], -v[216:217]
	v_fma_f64 v[208:209], v[208:209], v[170:171], v[245:246]
	s_waitcnt vmcnt(2) lgkmcnt(1)
	v_mul_f64 v[170:171], v[174:175], v[196:197]
	v_mul_f64 v[196:197], v[172:173], v[196:197]
	v_add_co_u32 v216, s0, 0x5800, v192
	v_add_co_ci_u32_e64 v217, s0, 0, v193, s0
	v_fma_f64 v[210:211], v[210:211], v[188:189], -v[249:250]
	v_fma_f64 v[212:213], v[212:213], v[188:189], v[190:191]
	s_waitcnt vmcnt(1)
	v_mul_f64 v[249:250], v[239:240], v[200:201]
	global_load_dwordx4 v[188:191], v[216:217], off offset:368
	v_mul_f64 v[200:201], v[237:238], v[200:201]
	ds_read_b128 v[245:248], v223 offset:9936
	v_fma_f64 v[170:171], v[172:173], v[194:195], -v[170:171]
	v_fma_f64 v[172:173], v[174:175], v[194:195], v[196:197]
	ds_read_b128 v[194:197], v223 offset:5616
	v_add_co_u32 v174, s0, 0x3800, v192
	v_add_co_ci_u32_e64 v175, s0, 0, v193, s0
	v_fma_f64 v[237:238], v[237:238], v[198:199], -v[249:250]
	global_load_dwordx4 v[249:252], v[174:175], off offset:1216
	v_fma_f64 v[239:240], v[239:240], v[198:199], v[200:201]
	ds_read_b128 v[198:201], v223 offset:6912
	s_waitcnt vmcnt(2) lgkmcnt(1)
	v_mul_f64 v[174:175], v[196:197], v[204:205]
	v_mul_f64 v[204:205], v[194:195], v[204:205]
	v_fma_f64 v[192:193], v[194:195], v[202:203], -v[174:175]
	v_fma_f64 v[194:195], v[196:197], v[202:203], v[204:205]
	s_clause 0x1
	global_load_dwordx4 v[202:205], v[214:215], off offset:1440
	global_load_dwordx4 v[214:217], v[216:217], off offset:1664
	s_waitcnt vmcnt(3)
	v_mul_f64 v[174:175], v[247:248], v[190:191]
	v_mul_f64 v[190:191], v[245:246], v[190:191]
	v_fma_f64 v[245:246], v[245:246], v[188:189], -v[174:175]
	s_waitcnt vmcnt(2)
	v_mul_f64 v[174:175], v[243:244], v[251:252]
	v_mul_f64 v[196:197], v[241:242], v[251:252]
	v_fma_f64 v[247:248], v[247:248], v[188:189], v[190:191]
	ds_read_b128 v[188:191], v223 offset:11232
	v_fma_f64 v[241:242], v[241:242], v[249:250], -v[174:175]
	v_fma_f64 v[243:244], v[243:244], v[249:250], v[196:197]
	s_waitcnt vmcnt(1) lgkmcnt(1)
	v_mul_f64 v[174:175], v[200:201], v[204:205]
	v_mul_f64 v[204:205], v[198:199], v[204:205]
	s_waitcnt vmcnt(0) lgkmcnt(0)
	v_mul_f64 v[249:250], v[190:191], v[216:217]
	v_mul_f64 v[216:217], v[188:189], v[216:217]
	v_fma_f64 v[196:197], v[198:199], v[202:203], -v[174:175]
	v_fma_f64 v[198:199], v[200:201], v[202:203], v[204:205]
	v_fma_f64 v[188:189], v[188:189], v[214:215], -v[249:250]
	v_fma_f64 v[190:191], v[190:191], v[214:215], v[216:217]
	ds_write_b128 v223, v[206:209]
	ds_write_b128 v223, v[210:213] offset:4320
	ds_write_b128 v223, v[170:173] offset:8640
	;; [unrolled: 1-line block ×8, first 2 shown]
	s_and_saveexec_b32 s1, vcc_lo
	s_cbranch_execz .LBB0_21
; %bb.20:
	v_add_co_u32 v170, s0, 0x800, v168
	v_add_co_ci_u32_e64 v171, s0, 0, v169, s0
	v_add_co_u32 v172, s0, 0x2000, v168
	v_add_co_ci_u32_e64 v173, s0, 0, v169, s0
	v_add_co_u32 v188, s0, 0x3000, v168
	v_add_co_ci_u32_e64 v189, s0, 0, v169, s0
	s_clause 0x2
	global_load_dwordx4 v[168:171], v[170:171], off offset:1840
	global_load_dwordx4 v[172:175], v[172:173], off offset:16
	;; [unrolled: 1-line block ×3, first 2 shown]
	ds_read_b128 v[192:195], v223 offset:3888
	ds_read_b128 v[196:199], v223 offset:8208
	;; [unrolled: 1-line block ×3, first 2 shown]
	s_waitcnt vmcnt(2) lgkmcnt(2)
	v_mul_f64 v[204:205], v[194:195], v[170:171]
	v_mul_f64 v[170:171], v[192:193], v[170:171]
	s_waitcnt vmcnt(1) lgkmcnt(1)
	v_mul_f64 v[206:207], v[198:199], v[174:175]
	v_mul_f64 v[174:175], v[196:197], v[174:175]
	;; [unrolled: 3-line block ×3, first 2 shown]
	v_fma_f64 v[190:191], v[192:193], v[168:169], -v[204:205]
	v_fma_f64 v[192:193], v[194:195], v[168:169], v[170:171]
	v_fma_f64 v[168:169], v[196:197], v[172:173], -v[206:207]
	v_fma_f64 v[170:171], v[198:199], v[172:173], v[174:175]
	;; [unrolled: 2-line block ×3, first 2 shown]
	ds_write_b128 v223, v[190:193] offset:3888
	ds_write_b128 v223, v[168:171] offset:8208
	;; [unrolled: 1-line block ×3, first 2 shown]
.LBB0_21:
	s_or_b32 exec_lo, exec_lo, s1
	s_waitcnt lgkmcnt(0)
	s_barrier
	buffer_gl0_inv
	ds_read_b128 v[172:175], v223
	ds_read_b128 v[188:191], v223 offset:1296
	ds_read_b128 v[208:211], v223 offset:8640
	;; [unrolled: 1-line block ×8, first 2 shown]
	s_and_saveexec_b32 s0, vcc_lo
	s_cbranch_execz .LBB0_23
; %bb.22:
	ds_read_b128 v[176:179], v223 offset:3888
	ds_read_b128 v[180:183], v223 offset:8208
	;; [unrolled: 1-line block ×3, first 2 shown]
.LBB0_23:
	s_or_b32 exec_lo, exec_lo, s0
	s_waitcnt lgkmcnt(4)
	v_add_f64 v[237:238], v[174:175], v[214:215]
	v_add_f64 v[216:217], v[172:173], v[212:213]
	v_add_f64 v[241:242], v[214:215], -v[210:211]
	v_add_f64 v[214:215], v[214:215], v[210:211]
	v_add_f64 v[239:240], v[212:213], v[208:209]
	v_add_f64 v[212:213], v[212:213], -v[208:209]
	s_waitcnt lgkmcnt(2)
	v_add_f64 v[243:244], v[204:205], v[200:201]
	v_add_f64 v[245:246], v[206:207], -v[202:203]
	v_add_f64 v[247:248], v[206:207], v[202:203]
	v_add_f64 v[249:250], v[204:205], -v[200:201]
	s_waitcnt lgkmcnt(0)
	v_add_f64 v[251:252], v[194:195], -v[198:199]
	v_add_f64 v[219:220], v[192:193], -v[196:197]
	s_mov_b32 s0, 0xe8584caa
	s_mov_b32 s1, 0xbfebb67a
	;; [unrolled: 1-line block ×4, first 2 shown]
	s_barrier
	buffer_gl0_inv
	v_add_f64 v[210:211], v[237:238], v[210:211]
	v_add_f64 v[237:238], v[190:191], v[206:207]
	v_add_f64 v[208:209], v[216:217], v[208:209]
	v_add_f64 v[216:217], v[188:189], v[204:205]
	v_add_f64 v[206:207], v[170:171], v[194:195]
	v_add_f64 v[204:205], v[168:169], v[192:193]
	v_fma_f64 v[172:173], v[239:240], -0.5, v[172:173]
	v_fma_f64 v[174:175], v[214:215], -0.5, v[174:175]
	;; [unrolled: 1-line block ×3, first 2 shown]
	v_add_f64 v[202:203], v[237:238], v[202:203]
	v_add_f64 v[237:238], v[194:195], v[198:199]
	;; [unrolled: 1-line block ×5, first 2 shown]
	v_fma_f64 v[198:199], v[243:244], -0.5, v[188:189]
	v_add_f64 v[188:189], v[180:181], v[184:185]
	v_fma_f64 v[192:193], v[241:242], s[2:3], v[172:173]
	v_fma_f64 v[190:191], v[212:213], s[2:3], v[174:175]
	;; [unrolled: 1-line block ×3, first 2 shown]
	v_add_f64 v[204:205], v[204:205], v[196:197]
	v_fma_f64 v[170:171], v[237:238], -0.5, v[170:171]
	v_fma_f64 v[168:169], v[216:217], -0.5, v[168:169]
	v_add_f64 v[216:217], v[182:183], -v[186:187]
	v_fma_f64 v[247:248], v[188:189], -0.5, v[176:177]
	v_fma_f64 v[188:189], v[241:242], s[0:1], v[172:173]
	v_fma_f64 v[196:197], v[245:246], s[0:1], v[198:199]
	;; [unrolled: 1-line block ×7, first 2 shown]
	v_add_f64 v[170:171], v[182:183], v[186:187]
	v_fma_f64 v[237:238], v[251:252], s[0:1], v[168:169]
	v_fma_f64 v[241:242], v[251:252], s[2:3], v[168:169]
	;; [unrolled: 1-line block ×4, first 2 shown]
	v_add_f64 v[216:217], v[180:181], -v[184:185]
	ds_write_b128 v233, v[208:211]
	ds_write_b128 v233, v[188:191] offset:16
	ds_write_b128 v233, v[192:195] offset:32
	ds_write_b128 v234, v[200:203]
	ds_write_b128 v234, v[196:199] offset:16
	ds_write_b128 v234, v[212:215] offset:32
	ds_write_b128 v231, v[204:207]
	ds_write_b128 v231, v[237:240] offset:16
	ds_write_b128 v231, v[241:244] offset:32
	v_fma_f64 v[174:175], v[170:171], -0.5, v[178:179]
	v_fma_f64 v[170:171], v[216:217], s[2:3], v[174:175]
	v_fma_f64 v[174:175], v[216:217], s[0:1], v[174:175]
	s_and_saveexec_b32 s0, vcc_lo
	s_cbranch_execz .LBB0_25
; %bb.24:
	v_add_f64 v[178:179], v[178:179], v[182:183]
	v_add_f64 v[176:177], v[176:177], v[180:181]
	v_lshlrev_b32_e32 v180, 4, v232
	v_add_f64 v[178:179], v[178:179], v[186:187]
	v_add_f64 v[176:177], v[176:177], v[184:185]
	ds_write_b128 v180, v[168:171] offset:16
	ds_write_b128 v180, v[176:179]
	ds_write_b128 v180, v[172:175] offset:32
.LBB0_25:
	s_or_b32 exec_lo, exec_lo, s0
	s_waitcnt lgkmcnt(0)
	s_barrier
	buffer_gl0_inv
	ds_read_b128 v[176:179], v223 offset:1296
	ds_read_b128 v[180:183], v223
	ds_read_b128 v[184:187], v223 offset:2592
	ds_read_b128 v[188:191], v223 offset:3888
	s_mov_b32 s12, 0x134454ff
	s_mov_b32 s13, 0xbfee6f0e
	;; [unrolled: 1-line block ×16, first 2 shown]
	s_waitcnt lgkmcnt(3)
	v_mul_f64 v[192:193], v[142:143], v[178:179]
	v_mul_f64 v[142:143], v[142:143], v[176:177]
	s_waitcnt lgkmcnt(1)
	v_mul_f64 v[194:195], v[130:131], v[186:187]
	v_mul_f64 v[130:131], v[130:131], v[184:185]
	v_fma_f64 v[176:177], v[140:141], v[176:177], v[192:193]
	s_waitcnt lgkmcnt(0)
	v_mul_f64 v[192:193], v[82:83], v[190:191]
	v_mul_f64 v[82:83], v[82:83], v[188:189]
	v_fma_f64 v[178:179], v[140:141], v[178:179], -v[142:143]
	v_fma_f64 v[184:185], v[128:129], v[184:185], v[194:195]
	v_fma_f64 v[186:187], v[128:129], v[186:187], -v[130:131]
	ds_read_b128 v[128:131], v223 offset:5184
	ds_read_b128 v[140:143], v223 offset:6480
	v_fma_f64 v[188:189], v[80:81], v[188:189], v[192:193]
	v_fma_f64 v[82:83], v[80:81], v[190:191], -v[82:83]
	s_waitcnt lgkmcnt(1)
	v_mul_f64 v[194:195], v[102:103], v[130:131]
	v_mul_f64 v[80:81], v[102:103], v[128:129]
	s_waitcnt lgkmcnt(0)
	v_mul_f64 v[190:191], v[78:79], v[142:143]
	v_mul_f64 v[192:193], v[78:79], v[140:141]
	v_fma_f64 v[194:195], v[100:101], v[128:129], v[194:195]
	v_fma_f64 v[196:197], v[100:101], v[130:131], -v[80:81]
	ds_read_b128 v[78:81], v223 offset:7776
	ds_read_b128 v[100:103], v223 offset:9072
	v_fma_f64 v[140:141], v[76:77], v[140:141], v[190:191]
	v_fma_f64 v[142:143], v[76:77], v[142:143], -v[192:193]
	ds_read_b128 v[128:131], v223 offset:10368
	s_waitcnt lgkmcnt(2)
	v_mul_f64 v[198:199], v[98:99], v[80:81]
	v_mul_f64 v[76:77], v[98:99], v[78:79]
	s_waitcnt lgkmcnt(1)
	v_mul_f64 v[190:191], v[74:75], v[102:103]
	v_mul_f64 v[74:75], v[74:75], v[100:101]
	v_add_f64 v[192:193], v[194:195], -v[184:185]
	v_fma_f64 v[98:99], v[96:97], v[78:79], v[198:199]
	v_fma_f64 v[80:81], v[96:97], v[80:81], -v[76:77]
	ds_read_b128 v[76:79], v223 offset:11664
	s_waitcnt lgkmcnt(1)
	v_mul_f64 v[96:97], v[94:95], v[130:131]
	v_mul_f64 v[94:95], v[94:95], v[128:129]
	v_fma_f64 v[100:101], v[72:73], v[100:101], v[190:191]
	v_fma_f64 v[102:103], v[72:73], v[102:103], -v[74:75]
	v_add_f64 v[190:191], v[182:183], v[186:187]
	s_waitcnt lgkmcnt(0)
	s_barrier
	buffer_gl0_inv
	v_add_f64 v[72:73], v[194:195], v[98:99]
	v_fma_f64 v[96:97], v[92:93], v[128:129], v[96:97]
	v_fma_f64 v[92:93], v[92:93], v[130:131], -v[94:95]
	v_mul_f64 v[94:95], v[70:71], v[78:79]
	v_mul_f64 v[128:129], v[70:71], v[76:77]
	v_add_f64 v[130:131], v[180:181], v[184:185]
	v_fma_f64 v[198:199], v[72:73], -0.5, v[180:181]
	v_add_f64 v[74:75], v[184:185], v[96:97]
	v_add_f64 v[72:73], v[98:99], -v[96:97]
	v_fma_f64 v[70:71], v[68:69], v[76:77], v[94:95]
	v_fma_f64 v[68:69], v[68:69], v[78:79], -v[128:129]
	v_add_f64 v[78:79], v[184:185], -v[194:195]
	v_add_f64 v[128:129], v[96:97], -v[98:99]
	v_add_f64 v[76:77], v[196:197], v[80:81]
	v_add_f64 v[94:95], v[186:187], v[92:93]
	;; [unrolled: 1-line block ×3, first 2 shown]
	v_add_f64 v[194:195], v[194:195], -v[98:99]
	v_fma_f64 v[180:181], v[74:75], -0.5, v[180:181]
	v_add_f64 v[74:75], v[186:187], -v[196:197]
	v_add_f64 v[72:73], v[192:193], v[72:73]
	v_add_f64 v[192:193], v[70:71], -v[100:101]
	v_add_f64 v[200:201], v[100:101], -v[70:71]
	v_add_f64 v[78:79], v[78:79], v[128:129]
	v_add_f64 v[128:129], v[92:93], -v[80:81]
	v_fma_f64 v[76:77], v[76:77], -0.5, v[182:183]
	v_fma_f64 v[94:95], v[94:95], -0.5, v[182:183]
	v_add_f64 v[182:183], v[196:197], -v[186:187]
	v_add_f64 v[98:99], v[130:131], v[98:99]
	v_add_f64 v[130:131], v[190:191], v[196:197]
	v_add_f64 v[190:191], v[196:197], -v[80:81]
	v_add_f64 v[196:197], v[188:189], v[70:71]
	v_add_f64 v[202:203], v[68:69], -v[102:103]
	v_add_f64 v[204:205], v[102:103], -v[68:69]
	v_add_f64 v[74:75], v[74:75], v[128:129]
	v_add_f64 v[128:129], v[80:81], -v[92:93]
	v_add_f64 v[80:81], v[130:131], v[80:81]
	v_add_f64 v[130:131], v[140:141], v[100:101]
	v_fma_f64 v[196:197], v[196:197], -0.5, v[176:177]
	v_add_f64 v[128:129], v[182:183], v[128:129]
	v_add_f64 v[182:183], v[188:189], -v[140:141]
	v_add_f64 v[80:81], v[80:81], v[92:93]
	v_fma_f64 v[130:131], v[130:131], -0.5, v[176:177]
	v_add_f64 v[176:177], v[176:177], v[188:189]
	v_add_f64 v[182:183], v[182:183], v[192:193]
	v_add_f64 v[192:193], v[140:141], -v[188:189]
	v_add_f64 v[176:177], v[176:177], v[140:141]
	v_add_f64 v[140:141], v[140:141], -v[100:101]
	;; [unrolled: 2-line block ×3, first 2 shown]
	v_add_f64 v[100:101], v[176:177], v[100:101]
	v_add_f64 v[176:177], v[142:143], v[102:103]
	;; [unrolled: 1-line block ×3, first 2 shown]
	v_add_f64 v[202:203], v[142:143], -v[82:83]
	v_fma_f64 v[176:177], v[176:177], -0.5, v[178:179]
	v_add_f64 v[202:203], v[202:203], v[204:205]
	v_add_f64 v[204:205], v[82:83], v[68:69]
	v_fma_f64 v[204:205], v[204:205], -0.5, v[178:179]
	v_add_f64 v[178:179], v[178:179], v[82:83]
	v_add_f64 v[82:83], v[82:83], -v[68:69]
	v_add_f64 v[178:179], v[178:179], v[142:143]
	v_add_f64 v[142:143], v[142:143], -v[102:103]
	;; [unrolled: 2-line block ×4, first 2 shown]
	v_add_f64 v[92:93], v[188:189], -v[70:71]
	v_fma_f64 v[188:189], v[140:141], s[2:3], v[204:205]
	v_add_f64 v[70:71], v[100:101], v[70:71]
	v_add_f64 v[68:69], v[102:103], v[68:69]
	v_fma_f64 v[184:185], v[98:99], s[12:13], v[198:199]
	v_fma_f64 v[186:187], v[98:99], s[2:3], v[198:199]
	;; [unrolled: 1-line block ×14, first 2 shown]
	v_add_f64 v[78:79], v[80:81], -v[68:69]
	v_fma_f64 v[180:181], v[92:93], s[0:1], v[180:181]
	v_fma_f64 v[92:93], v[92:93], s[4:5], v[188:189]
	;; [unrolled: 1-line block ×21, first 2 shown]
	v_mul_f64 v[176:177], v[188:189], s[4:5]
	v_mul_f64 v[188:189], v[188:189], s[16:17]
	v_fma_f64 v[142:143], v[192:193], s[14:15], v[142:143]
	v_fma_f64 v[196:197], v[194:195], s[0:1], v[196:197]
	;; [unrolled: 1-line block ×5, first 2 shown]
	v_mul_f64 v[178:179], v[180:181], s[12:13]
	v_mul_f64 v[180:181], v[180:181], s[14:15]
	v_fma_f64 v[82:83], v[192:193], s[14:15], v[82:83]
	v_mul_f64 v[192:193], v[92:93], s[12:13]
	v_mul_f64 v[92:93], v[92:93], s[18:19]
	v_fma_f64 v[130:131], v[182:183], s[14:15], v[130:131]
	;; [unrolled: 3-line block ×3, first 2 shown]
	v_fma_f64 v[100:101], v[100:101], s[0:1], v[188:189]
	v_fma_f64 v[188:189], v[72:73], s[14:15], v[98:99]
	;; [unrolled: 1-line block ×3, first 2 shown]
	v_add_f64 v[72:73], v[96:97], v[70:71]
	v_fma_f64 v[194:195], v[128:129], s[14:15], v[194:195]
	v_fma_f64 v[196:197], v[128:129], s[14:15], v[94:95]
	;; [unrolled: 1-line block ×7, first 2 shown]
	v_add_f64 v[74:75], v[80:81], v[68:69]
	v_fma_f64 v[182:183], v[130:131], s[20:21], v[182:183]
	v_fma_f64 v[200:201], v[130:131], s[0:1], v[140:141]
	v_add_f64 v[76:77], v[96:97], -v[70:71]
	v_add_f64 v[80:81], v[102:103], v[176:177]
	v_add_f64 v[96:97], v[102:103], -v[176:177]
	v_add_f64 v[82:83], v[190:191], v[100:101]
	;; [unrolled: 2-line block ×3, first 2 shown]
	v_add_f64 v[94:95], v[194:195], v[142:143]
	v_add_f64 v[130:131], v[194:195], -v[142:143]
	v_add_f64 v[100:101], v[188:189], v[192:193]
	v_add_f64 v[102:103], v[196:197], v[198:199]
	v_add_f64 v[128:129], v[186:187], -v[178:179]
	v_add_f64 v[140:141], v[184:185], v[182:183]
	v_add_f64 v[142:143], v[180:181], v[200:201]
	v_add_f64 v[176:177], v[188:189], -v[192:193]
	v_add_f64 v[178:179], v[196:197], -v[198:199]
	;; [unrolled: 1-line block ×4, first 2 shown]
	ds_write_b128 v226, v[72:75]
	ds_write_b128 v226, v[76:79] offset:240
	ds_write_b128 v226, v[80:83] offset:48
	;; [unrolled: 1-line block ×9, first 2 shown]
	s_waitcnt lgkmcnt(0)
	s_barrier
	buffer_gl0_inv
	ds_read_b128 v[72:75], v223
	ds_read_b128 v[76:79], v223 offset:1296
	ds_read_b128 v[92:95], v223 offset:8640
	;; [unrolled: 1-line block ×8, first 2 shown]
	s_and_saveexec_b32 s0, vcc_lo
	s_cbranch_execz .LBB0_27
; %bb.26:
	ds_read_b128 v[68:71], v223 offset:3888
	ds_read_b128 v[168:171], v223 offset:8208
	;; [unrolled: 1-line block ×3, first 2 shown]
.LBB0_27:
	s_or_b32 exec_lo, exec_lo, s0
	s_waitcnt lgkmcnt(4)
	v_mul_f64 v[180:181], v[58:59], v[178:179]
	v_mul_f64 v[58:59], v[58:59], v[176:177]
	;; [unrolled: 1-line block ×4, first 2 shown]
	s_waitcnt lgkmcnt(2)
	v_mul_f64 v[184:185], v[54:55], v[142:143]
	v_mul_f64 v[186:187], v[42:43], v[98:99]
	;; [unrolled: 1-line block ×4, first 2 shown]
	s_waitcnt lgkmcnt(1)
	v_mul_f64 v[188:189], v[50:51], v[102:103]
	s_waitcnt lgkmcnt(0)
	v_mul_f64 v[190:191], v[46:47], v[130:131]
	v_mul_f64 v[50:51], v[50:51], v[100:101]
	;; [unrolled: 1-line block ×7, first 2 shown]
	s_mov_b32 s0, 0xe8584caa
	s_mov_b32 s1, 0xbfebb67a
	;; [unrolled: 1-line block ×4, first 2 shown]
	s_barrier
	v_fma_f64 v[176:177], v[56:57], v[176:177], v[180:181]
	v_fma_f64 v[56:57], v[56:57], v[178:179], -v[58:59]
	v_fma_f64 v[58:59], v[36:37], v[92:93], v[182:183]
	v_fma_f64 v[36:37], v[36:37], v[94:95], -v[38:39]
	v_fma_f64 v[38:39], v[52:53], v[140:141], v[184:185]
	v_fma_f64 v[92:93], v[40:41], v[96:97], v[186:187]
	v_fma_f64 v[52:53], v[52:53], v[142:143], -v[54:55]
	v_fma_f64 v[54:55], v[40:41], v[98:99], -v[42:43]
	v_fma_f64 v[40:41], v[48:49], v[100:101], v[188:189]
	v_fma_f64 v[94:95], v[44:45], v[128:129], v[190:191]
	v_fma_f64 v[42:43], v[48:49], v[102:103], -v[50:51]
	;; [unrolled: 4-line block ×3, first 2 shown]
	v_fma_f64 v[60:61], v[60:61], v[174:175], -v[62:63]
	buffer_gl0_inv
	v_add_f64 v[100:101], v[72:73], v[176:177]
	v_add_f64 v[48:49], v[176:177], v[58:59]
	;; [unrolled: 1-line block ×3, first 2 shown]
	v_add_f64 v[128:129], v[56:57], -v[36:37]
	v_add_f64 v[64:65], v[38:39], v[92:93]
	v_add_f64 v[56:57], v[74:75], v[56:57]
	;; [unrolled: 1-line block ×3, first 2 shown]
	v_add_f64 v[142:143], v[176:177], -v[58:59]
	v_add_f64 v[98:99], v[40:41], v[94:95]
	v_add_f64 v[168:169], v[76:77], v[38:39]
	;; [unrolled: 1-line block ×10, first 2 shown]
	v_add_f64 v[52:53], v[52:53], -v[54:55]
	v_add_f64 v[184:185], v[40:41], -v[94:95]
	;; [unrolled: 1-line block ×3, first 2 shown]
	v_add_f64 v[40:41], v[100:101], v[58:59]
	v_add_f64 v[182:183], v[42:43], -v[50:51]
	v_fma_f64 v[72:73], v[48:49], -0.5, v[72:73]
	v_fma_f64 v[74:75], v[62:63], -0.5, v[74:75]
	;; [unrolled: 1-line block ×3, first 2 shown]
	v_add_f64 v[42:43], v[56:57], v[36:37]
	v_fma_f64 v[78:79], v[66:67], -0.5, v[78:79]
	v_fma_f64 v[80:81], v[98:99], -0.5, v[80:81]
	v_add_f64 v[98:99], v[46:47], -v[60:61]
	v_fma_f64 v[82:83], v[102:103], -0.5, v[82:83]
	v_add_f64 v[102:103], v[44:45], -v[96:97]
	v_fma_f64 v[130:131], v[130:131], -0.5, v[68:69]
	v_add_f64 v[46:47], v[170:171], v[54:55]
	v_fma_f64 v[58:59], v[140:141], -0.5, v[70:71]
	v_add_f64 v[44:45], v[168:169], v[92:93]
	v_add_f64 v[36:37], v[176:177], v[96:97]
	v_add_f64 v[38:39], v[178:179], v[60:61]
	v_add_f64 v[48:49], v[172:173], v[94:95]
	v_add_f64 v[50:51], v[174:175], v[50:51]
	v_fma_f64 v[60:61], v[128:129], s[0:1], v[72:73]
	v_fma_f64 v[64:65], v[128:129], s[2:3], v[72:73]
	;; [unrolled: 1-line block ×16, first 2 shown]
	ds_write_b128 v229, v[40:43]
	ds_write_b128 v229, v[60:63] offset:480
	ds_write_b128 v229, v[64:67] offset:960
	ds_write_b128 v230, v[44:47]
	ds_write_b128 v230, v[68:71] offset:480
	ds_write_b128 v230, v[72:75] offset:960
	;; [unrolled: 3-line block ×3, first 2 shown]
	s_and_saveexec_b32 s0, vcc_lo
	s_cbranch_execz .LBB0_29
; %bb.28:
	v_mov_b32_e32 v40, 4
	v_lshlrev_b32_sdwa v40, v40, v225 dst_sel:DWORD dst_unused:UNUSED_PAD src0_sel:DWORD src1_sel:WORD_0
	ds_write_b128 v40, v[36:39] offset:11520
	ds_write_b128 v40, v[52:55] offset:12000
	;; [unrolled: 1-line block ×3, first 2 shown]
.LBB0_29:
	s_or_b32 exec_lo, exec_lo, s0
	s_waitcnt lgkmcnt(0)
	s_barrier
	buffer_gl0_inv
	ds_read_b128 v[44:47], v223
	ds_read_b128 v[40:43], v223 offset:1296
	ds_read_b128 v[72:75], v223 offset:8640
	;; [unrolled: 1-line block ×8, first 2 shown]
	s_and_saveexec_b32 s0, vcc_lo
	s_cbranch_execz .LBB0_31
; %bb.30:
	ds_read_b128 v[36:39], v223 offset:3888
	ds_read_b128 v[52:55], v223 offset:8208
	;; [unrolled: 1-line block ×3, first 2 shown]
.LBB0_31:
	s_or_b32 exec_lo, exec_lo, s0
	s_waitcnt lgkmcnt(4)
	v_mul_f64 v[92:93], v[106:107], v[82:83]
	v_mul_f64 v[94:95], v[106:107], v[80:81]
	;; [unrolled: 1-line block ×4, first 2 shown]
	s_waitcnt lgkmcnt(2)
	v_mul_f64 v[100:101], v[118:119], v[78:79]
	v_mul_f64 v[102:103], v[110:111], v[62:63]
	v_mul_f64 v[106:107], v[118:119], v[76:77]
	v_mul_f64 v[110:111], v[110:111], v[60:61]
	s_waitcnt lgkmcnt(1)
	v_mul_f64 v[114:115], v[126:127], v[66:67]
	s_waitcnt lgkmcnt(0)
	v_mul_f64 v[118:119], v[122:123], v[70:71]
	v_mul_f64 v[128:129], v[138:139], v[54:55]
	;; [unrolled: 1-line block ×7, first 2 shown]
	s_mov_b32 s0, 0xe8584caa
	s_mov_b32 s1, 0xbfebb67a
	s_mov_b32 s2, s0
	s_barrier
	buffer_gl0_inv
	v_fma_f64 v[80:81], v[104:105], v[80:81], v[92:93]
	v_fma_f64 v[82:83], v[104:105], v[82:83], -v[94:95]
	v_fma_f64 v[72:73], v[112:113], v[72:73], v[96:97]
	v_fma_f64 v[74:75], v[112:113], v[74:75], -v[98:99]
	v_fma_f64 v[76:77], v[116:117], v[76:77], v[100:101]
	v_fma_f64 v[60:61], v[108:109], v[60:61], v[102:103]
	v_fma_f64 v[78:79], v[116:117], v[78:79], -v[106:107]
	v_fma_f64 v[62:63], v[108:109], v[62:63], -v[110:111]
	v_fma_f64 v[64:65], v[124:125], v[64:65], v[114:115]
	v_fma_f64 v[68:69], v[120:121], v[68:69], v[118:119]
	;; [unrolled: 1-line block ×4, first 2 shown]
	v_fma_f64 v[54:55], v[136:137], v[54:55], -v[138:139]
	v_fma_f64 v[94:95], v[132:133], v[58:59], -v[134:135]
	;; [unrolled: 1-line block ×4, first 2 shown]
	v_add_f64 v[102:103], v[44:45], v[80:81]
	v_add_f64 v[56:57], v[80:81], v[72:73]
	;; [unrolled: 1-line block ×3, first 2 shown]
	v_add_f64 v[106:107], v[82:83], -v[74:75]
	v_add_f64 v[96:97], v[76:77], v[60:61]
	v_add_f64 v[82:83], v[46:47], v[82:83]
	;; [unrolled: 1-line block ×3, first 2 shown]
	v_add_f64 v[80:81], v[80:81], -v[72:73]
	v_add_f64 v[100:101], v[64:65], v[68:69]
	v_add_f64 v[112:113], v[40:41], v[76:77]
	;; [unrolled: 1-line block ×10, first 2 shown]
	v_add_f64 v[78:79], v[78:79], -v[62:63]
	v_add_f64 v[76:77], v[76:77], -v[60:61]
	;; [unrolled: 1-line block ×4, first 2 shown]
	v_fma_f64 v[44:45], v[56:57], -0.5, v[44:45]
	v_fma_f64 v[46:47], v[58:59], -0.5, v[46:47]
	;; [unrolled: 1-line block ×3, first 2 shown]
	v_add_f64 v[96:97], v[66:67], -v[70:71]
	v_fma_f64 v[42:43], v[98:99], -0.5, v[42:43]
	v_add_f64 v[98:99], v[64:65], -v[68:69]
	v_fma_f64 v[100:101], v[100:101], -0.5, v[48:49]
	v_add_f64 v[48:49], v[102:103], v[72:73]
	v_fma_f64 v[108:109], v[108:109], -0.5, v[36:37]
	v_add_f64 v[52:53], v[112:113], v[60:61]
	;; [unrolled: 2-line block ×4, first 2 shown]
	v_add_f64 v[56:57], v[116:117], v[68:69]
	v_add_f64 v[58:59], v[118:119], v[70:71]
	;; [unrolled: 1-line block ×4, first 2 shown]
	v_fma_f64 v[60:61], v[106:107], s[0:1], v[44:45]
	v_fma_f64 v[64:65], v[106:107], s[2:3], v[44:45]
	;; [unrolled: 1-line block ×16, first 2 shown]
	ds_write_b128 v223, v[48:51]
	ds_write_b128 v223, v[60:63] offset:1440
	ds_write_b128 v223, v[64:67] offset:2880
	ds_write_b128 v236, v[52:55]
	ds_write_b128 v236, v[68:71] offset:1440
	ds_write_b128 v236, v[72:75] offset:2880
	;; [unrolled: 3-line block ×3, first 2 shown]
	s_and_saveexec_b32 s0, vcc_lo
	s_cbranch_execz .LBB0_33
; %bb.32:
	v_mov_b32_e32 v48, 4
	v_lshlrev_b32_sdwa v48, v48, v227 dst_sel:DWORD dst_unused:UNUSED_PAD src0_sel:DWORD src1_sel:WORD_0
	ds_write_b128 v48, v[36:39] offset:8640
	ds_write_b128 v48, v[40:43] offset:10080
	;; [unrolled: 1-line block ×3, first 2 shown]
.LBB0_33:
	s_or_b32 exec_lo, exec_lo, s0
	s_waitcnt lgkmcnt(0)
	s_barrier
	buffer_gl0_inv
	ds_read_b128 v[56:59], v223
	ds_read_b128 v[48:51], v223 offset:1296
	ds_read_b128 v[72:75], v223 offset:8640
	;; [unrolled: 1-line block ×8, first 2 shown]
	s_and_saveexec_b32 s0, vcc_lo
	s_cbranch_execz .LBB0_35
; %bb.34:
	ds_read_b128 v[36:39], v223 offset:3888
	ds_read_b128 v[40:43], v223 offset:8208
	;; [unrolled: 1-line block ×3, first 2 shown]
.LBB0_35:
	s_or_b32 exec_lo, exec_lo, s0
	s_waitcnt lgkmcnt(4)
	v_mul_f64 v[92:93], v[86:87], v[82:83]
	v_mul_f64 v[94:95], v[90:91], v[74:75]
	;; [unrolled: 1-line block ×4, first 2 shown]
	s_waitcnt lgkmcnt(2)
	v_mul_f64 v[96:97], v[154:155], v[78:79]
	v_mul_f64 v[98:99], v[158:159], v[62:63]
	;; [unrolled: 1-line block ×4, first 2 shown]
	s_waitcnt lgkmcnt(1)
	v_mul_f64 v[104:105], v[162:163], v[66:67]
	s_waitcnt lgkmcnt(0)
	v_mul_f64 v[106:107], v[166:167], v[70:71]
	v_mul_f64 v[108:109], v[162:163], v[64:65]
	;; [unrolled: 1-line block ×3, first 2 shown]
	s_mov_b32 s0, 0xe8584caa
	s_mov_b32 s1, 0xbfebb67a
	;; [unrolled: 1-line block ×3, first 2 shown]
	v_fma_f64 v[80:81], v[84:85], v[80:81], v[92:93]
	v_fma_f64 v[72:73], v[88:89], v[72:73], v[94:95]
	v_fma_f64 v[82:83], v[84:85], v[82:83], -v[86:87]
	v_fma_f64 v[74:75], v[88:89], v[74:75], -v[90:91]
	v_fma_f64 v[76:77], v[152:153], v[76:77], v[96:97]
	v_fma_f64 v[60:61], v[156:157], v[60:61], v[98:99]
	v_fma_f64 v[78:79], v[152:153], v[78:79], -v[100:101]
	v_fma_f64 v[62:63], v[156:157], v[62:63], -v[102:103]
	v_fma_f64 v[64:65], v[160:161], v[64:65], v[104:105]
	v_fma_f64 v[68:69], v[164:165], v[68:69], v[106:107]
	v_fma_f64 v[66:67], v[160:161], v[66:67], -v[108:109]
	v_fma_f64 v[70:71], v[164:165], v[70:71], -v[110:111]
	v_add_f64 v[96:97], v[56:57], v[80:81]
	v_add_f64 v[84:85], v[80:81], v[72:73]
	v_add_f64 v[80:81], v[80:81], -v[72:73]
	v_add_f64 v[86:87], v[82:83], v[74:75]
	v_add_f64 v[98:99], v[82:83], -v[74:75]
	v_add_f64 v[88:89], v[76:77], v[60:61]
	v_add_f64 v[82:83], v[58:59], v[82:83]
	;; [unrolled: 1-line block ×9, first 2 shown]
	v_add_f64 v[78:79], v[78:79], -v[62:63]
	v_add_f64 v[76:77], v[76:77], -v[60:61]
	;; [unrolled: 1-line block ×4, first 2 shown]
	v_fma_f64 v[84:85], v[84:85], -0.5, v[56:57]
	v_fma_f64 v[86:87], v[86:87], -0.5, v[58:59]
	;; [unrolled: 1-line block ×3, first 2 shown]
	v_add_f64 v[48:49], v[96:97], v[72:73]
	v_fma_f64 v[90:91], v[90:91], -0.5, v[50:51]
	v_add_f64 v[50:51], v[82:83], v[74:75]
	v_fma_f64 v[92:93], v[92:93], -0.5, v[52:53]
	v_add_f64 v[52:53], v[100:101], v[60:61]
	v_fma_f64 v[94:95], v[94:95], -0.5, v[54:55]
	v_add_f64 v[54:55], v[102:103], v[62:63]
	v_add_f64 v[56:57], v[104:105], v[68:69]
	;; [unrolled: 1-line block ×3, first 2 shown]
	v_fma_f64 v[60:61], v[98:99], s[0:1], v[84:85]
	v_fma_f64 v[64:65], v[98:99], s[2:3], v[84:85]
	;; [unrolled: 1-line block ×12, first 2 shown]
	ds_write_b128 v223, v[48:51]
	ds_write_b128 v223, v[52:55] offset:1296
	ds_write_b128 v223, v[56:59] offset:2592
	ds_write_b128 v223, v[60:63] offset:4320
	ds_write_b128 v223, v[64:67] offset:8640
	ds_write_b128 v223, v[68:71] offset:5616
	ds_write_b128 v223, v[72:75] offset:9936
	ds_write_b128 v223, v[76:79] offset:6912
	ds_write_b128 v223, v[80:83] offset:11232
	s_and_saveexec_b32 s4, vcc_lo
	s_cbranch_execz .LBB0_37
; %bb.36:
	v_mul_f64 v[48:49], v[146:147], v[40:41]
	v_mul_f64 v[50:51], v[150:151], v[44:45]
	;; [unrolled: 1-line block ×4, first 2 shown]
	v_fma_f64 v[42:43], v[144:145], v[42:43], -v[48:49]
	v_fma_f64 v[46:47], v[148:149], v[46:47], -v[50:51]
	v_fma_f64 v[40:41], v[144:145], v[40:41], v[52:53]
	v_fma_f64 v[44:45], v[148:149], v[44:45], v[54:55]
	v_add_f64 v[54:55], v[38:39], v[42:43]
	v_add_f64 v[48:49], v[42:43], v[46:47]
	v_add_f64 v[56:57], v[42:43], -v[46:47]
	v_add_f64 v[50:51], v[40:41], v[44:45]
	v_add_f64 v[52:53], v[40:41], -v[44:45]
	v_add_f64 v[40:41], v[36:37], v[40:41]
	v_fma_f64 v[48:49], v[48:49], -0.5, v[38:39]
	v_add_f64 v[38:39], v[54:55], v[46:47]
	v_fma_f64 v[50:51], v[50:51], -0.5, v[36:37]
	v_add_f64 v[36:37], v[40:41], v[44:45]
	v_fma_f64 v[46:47], v[52:53], s[2:3], v[48:49]
	v_fma_f64 v[42:43], v[52:53], s[0:1], v[48:49]
	;; [unrolled: 1-line block ×4, first 2 shown]
	ds_write_b128 v223, v[36:39] offset:3888
	ds_write_b128 v223, v[44:47] offset:8208
	;; [unrolled: 1-line block ×3, first 2 shown]
.LBB0_37:
	s_or_b32 exec_lo, exec_lo, s4
	s_waitcnt lgkmcnt(0)
	s_barrier
	buffer_gl0_inv
	ds_read_b128 v[36:39], v223
	ds_read_b128 v[40:43], v223 offset:4320
	ds_read_b128 v[44:47], v223 offset:1296
	;; [unrolled: 1-line block ×3, first 2 shown]
	v_mad_u64_u32 v[72:73], null, s10, v218, 0
	v_mad_u64_u32 v[74:75], null, s8, v224, 0
	ds_read_b128 v[52:55], v223 offset:5616
	ds_read_b128 v[56:59], v223 offset:9936
	;; [unrolled: 1-line block ×5, first 2 shown]
	s_mul_i32 s1, s9, 0x10e
	s_mul_hi_u32 s4, s8, 0x10e
	s_mul_i32 s0, s8, 0x10e
	s_add_i32 s1, s4, s1
	v_mad_u64_u32 v[78:79], null, s11, v218, v[73:74]
	s_mov_b32 s2, 0x30abee4d
	s_mov_b32 s3, 0x3f543a27
	s_lshl_b64 s[4:5], s[0:1], 4
	s_mul_hi_u32 s12, s8, 0xfffffe35
	s_mul_i32 s10, s9, 0xfffffe35
	s_waitcnt lgkmcnt(8)
	v_mul_f64 v[76:77], v[2:3], v[38:39]
	v_mul_f64 v[2:3], v[2:3], v[36:37]
	s_waitcnt lgkmcnt(5)
	v_mul_f64 v[82:83], v[34:35], v[50:51]
	v_mul_f64 v[34:35], v[34:35], v[48:49]
	;; [unrolled: 1-line block ×3, first 2 shown]
	v_mov_b32_e32 v73, v78
	v_mul_f64 v[6:7], v[6:7], v[44:45]
	s_waitcnt lgkmcnt(4)
	v_mul_f64 v[86:87], v[14:15], v[54:55]
	v_mul_f64 v[14:15], v[14:15], v[52:53]
	s_waitcnt lgkmcnt(2)
	v_mul_f64 v[88:89], v[22:23], v[62:63]
	v_mul_f64 v[22:23], v[22:23], v[60:61]
	v_fma_f64 v[36:37], v[0:1], v[36:37], v[76:77]
	v_fma_f64 v[2:3], v[0:1], v[38:39], -v[2:3]
	v_mad_u64_u32 v[79:80], null, s9, v224, v[75:76]
	v_mul_f64 v[80:81], v[18:19], v[42:43]
	v_mul_f64 v[18:19], v[18:19], v[40:41]
	v_lshlrev_b64 v[0:1], 4, v[72:73]
	v_mul_f64 v[38:39], v[10:11], v[58:59]
	v_mul_f64 v[76:77], v[10:11], v[56:57]
	s_waitcnt lgkmcnt(1)
	v_mul_f64 v[72:73], v[26:27], v[66:67]
	v_mov_b32_e32 v75, v79
	v_mul_f64 v[26:27], v[26:27], v[64:65]
	s_waitcnt lgkmcnt(0)
	v_mul_f64 v[78:79], v[30:31], v[70:71]
	v_mul_f64 v[30:31], v[30:31], v[68:69]
	v_lshlrev_b64 v[10:11], 4, v[74:75]
	v_add_co_u32 v74, s0, s6, v0
	v_add_co_ci_u32_e64 v75, s0, s7, v1, s0
	v_mul_f64 v[0:1], v[36:37], s[2:3]
	v_mul_f64 v[2:3], v[2:3], s[2:3]
	v_add_co_u32 v36, s0, v74, v10
	v_fma_f64 v[40:41], v[16:17], v[40:41], v[80:81]
	v_fma_f64 v[16:17], v[16:17], v[42:43], -v[18:19]
	v_fma_f64 v[18:19], v[32:33], v[48:49], v[82:83]
	v_fma_f64 v[32:33], v[32:33], v[50:51], -v[34:35]
	v_fma_f64 v[34:35], v[4:5], v[44:45], v[84:85]
	v_fma_f64 v[44:45], v[4:5], v[46:47], -v[6:7]
	v_add_co_ci_u32_e64 v37, s0, v75, v11, s0
	v_fma_f64 v[46:47], v[12:13], v[52:53], v[86:87]
	v_add_co_u32 v42, s0, v36, s4
	v_add_co_ci_u32_e64 v43, s0, s5, v37, s0
	v_fma_f64 v[48:49], v[12:13], v[54:55], -v[14:15]
	v_add_co_u32 v50, s0, v42, s4
	v_add_co_ci_u32_e64 v51, s0, s5, v43, s0
	s_sub_i32 s0, s12, s8
	global_store_dwordx4 v[36:37], v[0:3], off
	v_fma_f64 v[2:3], v[8:9], v[58:59], -v[76:77]
	v_fma_f64 v[0:1], v[8:9], v[56:57], v[38:39]
	v_fma_f64 v[8:9], v[20:21], v[60:61], v[88:89]
	v_fma_f64 v[36:37], v[24:25], v[66:67], -v[26:27]
	v_mul_f64 v[4:5], v[40:41], s[2:3]
	v_mul_f64 v[12:13], v[32:33], s[2:3]
	v_fma_f64 v[32:33], v[20:21], v[62:63], -v[22:23]
	v_mul_f64 v[14:15], v[34:35], s[2:3]
	v_fma_f64 v[34:35], v[24:25], v[64:65], v[72:73]
	v_fma_f64 v[38:39], v[28:29], v[68:69], v[78:79]
	v_fma_f64 v[40:41], v[28:29], v[70:71], -v[30:31]
	v_mul_f64 v[6:7], v[16:17], s[2:3]
	s_add_i32 s1, s0, s10
	s_mul_i32 s0, s8, 0xfffffe35
	v_mul_f64 v[16:17], v[44:45], s[2:3]
	s_lshl_b64 s[6:7], s[0:1], 4
	v_mul_f64 v[10:11], v[18:19], s[2:3]
	v_add_co_u32 v44, s0, v50, s6
	v_add_co_ci_u32_e64 v45, s0, s7, v51, s0
	v_mul_f64 v[18:19], v[46:47], s[2:3]
	v_add_co_u32 v46, s0, v44, s4
	v_add_co_ci_u32_e64 v47, s0, s5, v45, s0
	v_mul_f64 v[20:21], v[48:49], s[2:3]
	v_mul_f64 v[24:25], v[2:3], s[2:3]
	v_add_co_u32 v2, s0, v46, s4
	v_mul_f64 v[22:23], v[0:1], s[2:3]
	v_mul_f64 v[26:27], v[8:9], s[2:3]
	;; [unrolled: 1-line block ×3, first 2 shown]
	v_add_co_ci_u32_e64 v3, s0, s5, v47, s0
	v_mul_f64 v[30:31], v[34:35], s[2:3]
	v_mul_f64 v[32:33], v[36:37], s[2:3]
	;; [unrolled: 1-line block ×4, first 2 shown]
	global_store_dwordx4 v[42:43], v[4:7], off
	v_add_co_u32 v4, s0, v2, s6
	v_add_co_ci_u32_e64 v5, s0, s7, v3, s0
	global_store_dwordx4 v[50:51], v[10:13], off
	v_add_co_u32 v6, s0, v4, s4
	v_add_co_ci_u32_e64 v7, s0, s5, v5, s0
	;; [unrolled: 3-line block ×3, first 2 shown]
	global_store_dwordx4 v[46:47], v[18:21], off
	global_store_dwordx4 v[2:3], v[22:25], off
	global_store_dwordx4 v[4:5], v[26:29], off
	global_store_dwordx4 v[6:7], v[30:33], off
	global_store_dwordx4 v[0:1], v[34:37], off
	s_and_b32 exec_lo, exec_lo, vcc_lo
	s_cbranch_execz .LBB0_39
; %bb.38:
	s_clause 0x1
	buffer_load_dword v2, off, s[24:27], 0
	buffer_load_dword v3, off, s[24:27], 0 offset:4
	v_add_co_u32 v0, vcc_lo, v0, s6
	v_add_co_ci_u32_e32 v1, vcc_lo, s7, v1, vcc_lo
	s_waitcnt vmcnt(0)
	s_clause 0x2
	global_load_dwordx4 v[2:5], v[2:3], off offset:1840
	global_load_dwordx4 v[6:9], v[253:254], off offset:16
	;; [unrolled: 1-line block ×3, first 2 shown]
	ds_read_b128 v[14:17], v223 offset:3888
	ds_read_b128 v[18:21], v223 offset:8208
	;; [unrolled: 1-line block ×3, first 2 shown]
	s_waitcnt vmcnt(2) lgkmcnt(2)
	v_mul_f64 v[26:27], v[16:17], v[4:5]
	v_mul_f64 v[4:5], v[14:15], v[4:5]
	s_waitcnt vmcnt(1) lgkmcnt(1)
	v_mul_f64 v[28:29], v[20:21], v[8:9]
	v_mul_f64 v[8:9], v[18:19], v[8:9]
	;; [unrolled: 3-line block ×3, first 2 shown]
	v_fma_f64 v[14:15], v[14:15], v[2:3], v[26:27]
	v_fma_f64 v[4:5], v[2:3], v[16:17], -v[4:5]
	v_fma_f64 v[16:17], v[18:19], v[6:7], v[28:29]
	v_fma_f64 v[8:9], v[6:7], v[20:21], -v[8:9]
	;; [unrolled: 2-line block ×3, first 2 shown]
	v_mul_f64 v[2:3], v[14:15], s[2:3]
	v_mul_f64 v[4:5], v[4:5], s[2:3]
	;; [unrolled: 1-line block ×6, first 2 shown]
	v_add_co_u32 v14, vcc_lo, v0, s4
	v_add_co_ci_u32_e32 v15, vcc_lo, s5, v1, vcc_lo
	v_add_co_u32 v16, vcc_lo, v14, s4
	v_add_co_ci_u32_e32 v17, vcc_lo, s5, v15, vcc_lo
	global_store_dwordx4 v[0:1], v[2:5], off
	global_store_dwordx4 v[14:15], v[6:9], off
	global_store_dwordx4 v[16:17], v[10:13], off
.LBB0_39:
	s_endpgm
	.section	.rodata,"a",@progbits
	.p2align	6, 0x0
	.amdhsa_kernel bluestein_single_back_len810_dim1_dp_op_CI_CI
		.amdhsa_group_segment_fixed_size 12960
		.amdhsa_private_segment_fixed_size 12
		.amdhsa_kernarg_size 104
		.amdhsa_user_sgpr_count 6
		.amdhsa_user_sgpr_private_segment_buffer 1
		.amdhsa_user_sgpr_dispatch_ptr 0
		.amdhsa_user_sgpr_queue_ptr 0
		.amdhsa_user_sgpr_kernarg_segment_ptr 1
		.amdhsa_user_sgpr_dispatch_id 0
		.amdhsa_user_sgpr_flat_scratch_init 0
		.amdhsa_user_sgpr_private_segment_size 0
		.amdhsa_wavefront_size32 1
		.amdhsa_uses_dynamic_stack 0
		.amdhsa_system_sgpr_private_segment_wavefront_offset 1
		.amdhsa_system_sgpr_workgroup_id_x 1
		.amdhsa_system_sgpr_workgroup_id_y 0
		.amdhsa_system_sgpr_workgroup_id_z 0
		.amdhsa_system_sgpr_workgroup_info 0
		.amdhsa_system_vgpr_workitem_id 0
		.amdhsa_next_free_vgpr 255
		.amdhsa_next_free_sgpr 28
		.amdhsa_reserve_vcc 1
		.amdhsa_reserve_flat_scratch 0
		.amdhsa_float_round_mode_32 0
		.amdhsa_float_round_mode_16_64 0
		.amdhsa_float_denorm_mode_32 3
		.amdhsa_float_denorm_mode_16_64 3
		.amdhsa_dx10_clamp 1
		.amdhsa_ieee_mode 1
		.amdhsa_fp16_overflow 0
		.amdhsa_workgroup_processor_mode 1
		.amdhsa_memory_ordered 1
		.amdhsa_forward_progress 0
		.amdhsa_shared_vgpr_count 0
		.amdhsa_exception_fp_ieee_invalid_op 0
		.amdhsa_exception_fp_denorm_src 0
		.amdhsa_exception_fp_ieee_div_zero 0
		.amdhsa_exception_fp_ieee_overflow 0
		.amdhsa_exception_fp_ieee_underflow 0
		.amdhsa_exception_fp_ieee_inexact 0
		.amdhsa_exception_int_div_zero 0
	.end_amdhsa_kernel
	.text
.Lfunc_end0:
	.size	bluestein_single_back_len810_dim1_dp_op_CI_CI, .Lfunc_end0-bluestein_single_back_len810_dim1_dp_op_CI_CI
                                        ; -- End function
	.section	.AMDGPU.csdata,"",@progbits
; Kernel info:
; codeLenInByte = 15820
; NumSgprs: 30
; NumVgprs: 255
; ScratchSize: 12
; MemoryBound: 0
; FloatMode: 240
; IeeeMode: 1
; LDSByteSize: 12960 bytes/workgroup (compile time only)
; SGPRBlocks: 3
; VGPRBlocks: 31
; NumSGPRsForWavesPerEU: 30
; NumVGPRsForWavesPerEU: 255
; Occupancy: 4
; WaveLimiterHint : 1
; COMPUTE_PGM_RSRC2:SCRATCH_EN: 1
; COMPUTE_PGM_RSRC2:USER_SGPR: 6
; COMPUTE_PGM_RSRC2:TRAP_HANDLER: 0
; COMPUTE_PGM_RSRC2:TGID_X_EN: 1
; COMPUTE_PGM_RSRC2:TGID_Y_EN: 0
; COMPUTE_PGM_RSRC2:TGID_Z_EN: 0
; COMPUTE_PGM_RSRC2:TIDIG_COMP_CNT: 0
	.text
	.p2alignl 6, 3214868480
	.fill 48, 4, 3214868480
	.type	__hip_cuid_e9d2010d639e7ef7,@object ; @__hip_cuid_e9d2010d639e7ef7
	.section	.bss,"aw",@nobits
	.globl	__hip_cuid_e9d2010d639e7ef7
__hip_cuid_e9d2010d639e7ef7:
	.byte	0                               ; 0x0
	.size	__hip_cuid_e9d2010d639e7ef7, 1

	.ident	"AMD clang version 19.0.0git (https://github.com/RadeonOpenCompute/llvm-project roc-6.4.0 25133 c7fe45cf4b819c5991fe208aaa96edf142730f1d)"
	.section	".note.GNU-stack","",@progbits
	.addrsig
	.addrsig_sym __hip_cuid_e9d2010d639e7ef7
	.amdgpu_metadata
---
amdhsa.kernels:
  - .args:
      - .actual_access:  read_only
        .address_space:  global
        .offset:         0
        .size:           8
        .value_kind:     global_buffer
      - .actual_access:  read_only
        .address_space:  global
        .offset:         8
        .size:           8
        .value_kind:     global_buffer
      - .actual_access:  read_only
        .address_space:  global
        .offset:         16
        .size:           8
        .value_kind:     global_buffer
      - .actual_access:  read_only
        .address_space:  global
        .offset:         24
        .size:           8
        .value_kind:     global_buffer
      - .actual_access:  read_only
        .address_space:  global
        .offset:         32
        .size:           8
        .value_kind:     global_buffer
      - .offset:         40
        .size:           8
        .value_kind:     by_value
      - .address_space:  global
        .offset:         48
        .size:           8
        .value_kind:     global_buffer
      - .address_space:  global
        .offset:         56
        .size:           8
        .value_kind:     global_buffer
      - .address_space:  global
        .offset:         64
        .size:           8
        .value_kind:     global_buffer
      - .address_space:  global
        .offset:         72
        .size:           8
        .value_kind:     global_buffer
      - .offset:         80
        .size:           4
        .value_kind:     by_value
      - .address_space:  global
        .offset:         88
        .size:           8
        .value_kind:     global_buffer
      - .address_space:  global
        .offset:         96
        .size:           8
        .value_kind:     global_buffer
    .group_segment_fixed_size: 12960
    .kernarg_segment_align: 8
    .kernarg_segment_size: 104
    .language:       OpenCL C
    .language_version:
      - 2
      - 0
    .max_flat_workgroup_size: 81
    .name:           bluestein_single_back_len810_dim1_dp_op_CI_CI
    .private_segment_fixed_size: 12
    .sgpr_count:     30
    .sgpr_spill_count: 0
    .symbol:         bluestein_single_back_len810_dim1_dp_op_CI_CI.kd
    .uniform_work_group_size: 1
    .uses_dynamic_stack: false
    .vgpr_count:     255
    .vgpr_spill_count: 2
    .wavefront_size: 32
    .workgroup_processor_mode: 1
amdhsa.target:   amdgcn-amd-amdhsa--gfx1030
amdhsa.version:
  - 1
  - 2
...

	.end_amdgpu_metadata
